;; amdgpu-corpus repo=ROCm/rocFFT kind=compiled arch=gfx1201 opt=O3
	.text
	.amdgcn_target "amdgcn-amd-amdhsa--gfx1201"
	.amdhsa_code_object_version 6
	.protected	fft_rtc_back_len1960_factors_4_7_2_7_5_wgs_56_tpt_56_halfLds_sp_op_CI_CI_unitstride_sbrr_R2C_dirReg ; -- Begin function fft_rtc_back_len1960_factors_4_7_2_7_5_wgs_56_tpt_56_halfLds_sp_op_CI_CI_unitstride_sbrr_R2C_dirReg
	.globl	fft_rtc_back_len1960_factors_4_7_2_7_5_wgs_56_tpt_56_halfLds_sp_op_CI_CI_unitstride_sbrr_R2C_dirReg
	.p2align	8
	.type	fft_rtc_back_len1960_factors_4_7_2_7_5_wgs_56_tpt_56_halfLds_sp_op_CI_CI_unitstride_sbrr_R2C_dirReg,@function
fft_rtc_back_len1960_factors_4_7_2_7_5_wgs_56_tpt_56_halfLds_sp_op_CI_CI_unitstride_sbrr_R2C_dirReg: ; @fft_rtc_back_len1960_factors_4_7_2_7_5_wgs_56_tpt_56_halfLds_sp_op_CI_CI_unitstride_sbrr_R2C_dirReg
; %bb.0:
	s_clause 0x2
	s_load_b128 s[8:11], s[0:1], 0x0
	s_load_b128 s[4:7], s[0:1], 0x58
	;; [unrolled: 1-line block ×3, first 2 shown]
	v_mul_u32_u24_e32 v1, 0x493, v0
	v_mov_b32_e32 v3, 0
	s_delay_alu instid0(VALU_DEP_2) | instskip(NEXT) | instid1(VALU_DEP_1)
	v_lshrrev_b32_e32 v1, 16, v1
	v_add_nc_u32_e32 v5, ttmp9, v1
	v_mov_b32_e32 v1, 0
	v_mov_b32_e32 v2, 0
	;; [unrolled: 1-line block ×3, first 2 shown]
	s_wait_kmcnt 0x0
	v_cmp_lt_u64_e64 s2, s[10:11], 2
	s_delay_alu instid0(VALU_DEP_1)
	s_and_b32 vcc_lo, exec_lo, s2
	s_cbranch_vccnz .LBB0_8
; %bb.1:
	s_load_b64 s[2:3], s[0:1], 0x10
	v_mov_b32_e32 v1, 0
	v_mov_b32_e32 v2, 0
	s_add_nc_u64 s[16:17], s[14:15], 8
	s_add_nc_u64 s[18:19], s[12:13], 8
	s_mov_b64 s[20:21], 1
	s_delay_alu instid0(VALU_DEP_1)
	v_dual_mov_b32 v59, v2 :: v_dual_mov_b32 v58, v1
	s_wait_kmcnt 0x0
	s_add_nc_u64 s[22:23], s[2:3], 8
	s_mov_b32 s3, 0
.LBB0_2:                                ; =>This Inner Loop Header: Depth=1
	s_load_b64 s[24:25], s[22:23], 0x0
                                        ; implicit-def: $vgpr60_vgpr61
	s_mov_b32 s2, exec_lo
	s_wait_kmcnt 0x0
	v_or_b32_e32 v4, s25, v6
	s_delay_alu instid0(VALU_DEP_1)
	v_cmpx_ne_u64_e32 0, v[3:4]
	s_wait_alu 0xfffe
	s_xor_b32 s26, exec_lo, s2
	s_cbranch_execz .LBB0_4
; %bb.3:                                ;   in Loop: Header=BB0_2 Depth=1
	s_cvt_f32_u32 s2, s24
	s_cvt_f32_u32 s27, s25
	s_sub_nc_u64 s[30:31], 0, s[24:25]
	s_wait_alu 0xfffe
	s_delay_alu instid0(SALU_CYCLE_1) | instskip(SKIP_1) | instid1(SALU_CYCLE_2)
	s_fmamk_f32 s2, s27, 0x4f800000, s2
	s_wait_alu 0xfffe
	v_s_rcp_f32 s2, s2
	s_delay_alu instid0(TRANS32_DEP_1) | instskip(SKIP_1) | instid1(SALU_CYCLE_2)
	s_mul_f32 s2, s2, 0x5f7ffffc
	s_wait_alu 0xfffe
	s_mul_f32 s27, s2, 0x2f800000
	s_wait_alu 0xfffe
	s_delay_alu instid0(SALU_CYCLE_2) | instskip(SKIP_1) | instid1(SALU_CYCLE_2)
	s_trunc_f32 s27, s27
	s_wait_alu 0xfffe
	s_fmamk_f32 s2, s27, 0xcf800000, s2
	s_cvt_u32_f32 s29, s27
	s_wait_alu 0xfffe
	s_delay_alu instid0(SALU_CYCLE_1) | instskip(SKIP_1) | instid1(SALU_CYCLE_2)
	s_cvt_u32_f32 s28, s2
	s_wait_alu 0xfffe
	s_mul_u64 s[34:35], s[30:31], s[28:29]
	s_wait_alu 0xfffe
	s_mul_hi_u32 s37, s28, s35
	s_mul_i32 s36, s28, s35
	s_mul_hi_u32 s2, s28, s34
	s_mul_i32 s33, s29, s34
	s_wait_alu 0xfffe
	s_add_nc_u64 s[36:37], s[2:3], s[36:37]
	s_mul_hi_u32 s27, s29, s34
	s_mul_hi_u32 s38, s29, s35
	s_add_co_u32 s2, s36, s33
	s_wait_alu 0xfffe
	s_add_co_ci_u32 s2, s37, s27
	s_mul_i32 s34, s29, s35
	s_add_co_ci_u32 s35, s38, 0
	s_wait_alu 0xfffe
	s_add_nc_u64 s[34:35], s[2:3], s[34:35]
	s_wait_alu 0xfffe
	v_add_co_u32 v4, s2, s28, s34
	s_delay_alu instid0(VALU_DEP_1) | instskip(SKIP_1) | instid1(VALU_DEP_1)
	s_cmp_lg_u32 s2, 0
	s_add_co_ci_u32 s29, s29, s35
	v_readfirstlane_b32 s28, v4
	s_wait_alu 0xfffe
	s_delay_alu instid0(VALU_DEP_1)
	s_mul_u64 s[30:31], s[30:31], s[28:29]
	s_wait_alu 0xfffe
	s_mul_hi_u32 s35, s28, s31
	s_mul_i32 s34, s28, s31
	s_mul_hi_u32 s2, s28, s30
	s_mul_i32 s33, s29, s30
	s_wait_alu 0xfffe
	s_add_nc_u64 s[34:35], s[2:3], s[34:35]
	s_mul_hi_u32 s27, s29, s30
	s_mul_hi_u32 s28, s29, s31
	s_wait_alu 0xfffe
	s_add_co_u32 s2, s34, s33
	s_add_co_ci_u32 s2, s35, s27
	s_mul_i32 s30, s29, s31
	s_add_co_ci_u32 s31, s28, 0
	s_wait_alu 0xfffe
	s_add_nc_u64 s[30:31], s[2:3], s[30:31]
	s_wait_alu 0xfffe
	v_add_co_u32 v4, s2, v4, s30
	s_delay_alu instid0(VALU_DEP_1) | instskip(SKIP_1) | instid1(VALU_DEP_1)
	s_cmp_lg_u32 s2, 0
	s_add_co_ci_u32 s2, s29, s31
	v_mul_hi_u32 v13, v5, v4
	s_wait_alu 0xfffe
	v_mad_co_u64_u32 v[7:8], null, v5, s2, 0
	v_mad_co_u64_u32 v[9:10], null, v6, v4, 0
	;; [unrolled: 1-line block ×3, first 2 shown]
	s_delay_alu instid0(VALU_DEP_3) | instskip(SKIP_1) | instid1(VALU_DEP_4)
	v_add_co_u32 v4, vcc_lo, v13, v7
	s_wait_alu 0xfffd
	v_add_co_ci_u32_e32 v7, vcc_lo, 0, v8, vcc_lo
	s_delay_alu instid0(VALU_DEP_2) | instskip(SKIP_1) | instid1(VALU_DEP_2)
	v_add_co_u32 v4, vcc_lo, v4, v9
	s_wait_alu 0xfffd
	v_add_co_ci_u32_e32 v4, vcc_lo, v7, v10, vcc_lo
	s_wait_alu 0xfffd
	v_add_co_ci_u32_e32 v7, vcc_lo, 0, v12, vcc_lo
	s_delay_alu instid0(VALU_DEP_2) | instskip(SKIP_1) | instid1(VALU_DEP_2)
	v_add_co_u32 v4, vcc_lo, v4, v11
	s_wait_alu 0xfffd
	v_add_co_ci_u32_e32 v9, vcc_lo, 0, v7, vcc_lo
	s_delay_alu instid0(VALU_DEP_2) | instskip(SKIP_1) | instid1(VALU_DEP_3)
	v_mul_lo_u32 v10, s25, v4
	v_mad_co_u64_u32 v[7:8], null, s24, v4, 0
	v_mul_lo_u32 v11, s24, v9
	s_delay_alu instid0(VALU_DEP_2) | instskip(NEXT) | instid1(VALU_DEP_2)
	v_sub_co_u32 v7, vcc_lo, v5, v7
	v_add3_u32 v8, v8, v11, v10
	s_delay_alu instid0(VALU_DEP_1) | instskip(SKIP_1) | instid1(VALU_DEP_1)
	v_sub_nc_u32_e32 v10, v6, v8
	s_wait_alu 0xfffd
	v_subrev_co_ci_u32_e64 v10, s2, s25, v10, vcc_lo
	v_add_co_u32 v11, s2, v4, 2
	s_wait_alu 0xf1ff
	v_add_co_ci_u32_e64 v12, s2, 0, v9, s2
	v_sub_co_u32 v13, s2, v7, s24
	v_sub_co_ci_u32_e32 v8, vcc_lo, v6, v8, vcc_lo
	s_wait_alu 0xf1ff
	v_subrev_co_ci_u32_e64 v10, s2, 0, v10, s2
	s_delay_alu instid0(VALU_DEP_3) | instskip(NEXT) | instid1(VALU_DEP_3)
	v_cmp_le_u32_e32 vcc_lo, s24, v13
	v_cmp_eq_u32_e64 s2, s25, v8
	s_wait_alu 0xfffd
	v_cndmask_b32_e64 v13, 0, -1, vcc_lo
	v_cmp_le_u32_e32 vcc_lo, s25, v10
	s_wait_alu 0xfffd
	v_cndmask_b32_e64 v14, 0, -1, vcc_lo
	v_cmp_le_u32_e32 vcc_lo, s24, v7
	;; [unrolled: 3-line block ×3, first 2 shown]
	s_wait_alu 0xfffd
	v_cndmask_b32_e64 v15, 0, -1, vcc_lo
	v_cmp_eq_u32_e32 vcc_lo, s25, v10
	s_wait_alu 0xf1ff
	s_delay_alu instid0(VALU_DEP_2)
	v_cndmask_b32_e64 v7, v15, v7, s2
	s_wait_alu 0xfffd
	v_cndmask_b32_e32 v10, v14, v13, vcc_lo
	v_add_co_u32 v13, vcc_lo, v4, 1
	s_wait_alu 0xfffd
	v_add_co_ci_u32_e32 v14, vcc_lo, 0, v9, vcc_lo
	s_delay_alu instid0(VALU_DEP_3) | instskip(SKIP_1) | instid1(VALU_DEP_2)
	v_cmp_ne_u32_e32 vcc_lo, 0, v10
	s_wait_alu 0xfffd
	v_cndmask_b32_e32 v8, v14, v12, vcc_lo
	v_cndmask_b32_e32 v10, v13, v11, vcc_lo
	v_cmp_ne_u32_e32 vcc_lo, 0, v7
	s_wait_alu 0xfffd
	s_delay_alu instid0(VALU_DEP_2)
	v_dual_cndmask_b32 v61, v9, v8 :: v_dual_cndmask_b32 v60, v4, v10
.LBB0_4:                                ;   in Loop: Header=BB0_2 Depth=1
	s_wait_alu 0xfffe
	s_and_not1_saveexec_b32 s2, s26
	s_cbranch_execz .LBB0_6
; %bb.5:                                ;   in Loop: Header=BB0_2 Depth=1
	v_cvt_f32_u32_e32 v4, s24
	s_sub_co_i32 s26, 0, s24
	v_mov_b32_e32 v61, v3
	s_delay_alu instid0(VALU_DEP_2) | instskip(NEXT) | instid1(TRANS32_DEP_1)
	v_rcp_iflag_f32_e32 v4, v4
	v_mul_f32_e32 v4, 0x4f7ffffe, v4
	s_delay_alu instid0(VALU_DEP_1) | instskip(SKIP_1) | instid1(VALU_DEP_1)
	v_cvt_u32_f32_e32 v4, v4
	s_wait_alu 0xfffe
	v_mul_lo_u32 v7, s26, v4
	s_delay_alu instid0(VALU_DEP_1) | instskip(NEXT) | instid1(VALU_DEP_1)
	v_mul_hi_u32 v7, v4, v7
	v_add_nc_u32_e32 v4, v4, v7
	s_delay_alu instid0(VALU_DEP_1) | instskip(NEXT) | instid1(VALU_DEP_1)
	v_mul_hi_u32 v4, v5, v4
	v_mul_lo_u32 v7, v4, s24
	v_add_nc_u32_e32 v8, 1, v4
	s_delay_alu instid0(VALU_DEP_2) | instskip(NEXT) | instid1(VALU_DEP_1)
	v_sub_nc_u32_e32 v7, v5, v7
	v_subrev_nc_u32_e32 v9, s24, v7
	v_cmp_le_u32_e32 vcc_lo, s24, v7
	s_wait_alu 0xfffd
	s_delay_alu instid0(VALU_DEP_2) | instskip(NEXT) | instid1(VALU_DEP_1)
	v_dual_cndmask_b32 v7, v7, v9 :: v_dual_cndmask_b32 v4, v4, v8
	v_cmp_le_u32_e32 vcc_lo, s24, v7
	s_delay_alu instid0(VALU_DEP_2) | instskip(SKIP_1) | instid1(VALU_DEP_1)
	v_add_nc_u32_e32 v8, 1, v4
	s_wait_alu 0xfffd
	v_cndmask_b32_e32 v60, v4, v8, vcc_lo
.LBB0_6:                                ;   in Loop: Header=BB0_2 Depth=1
	s_wait_alu 0xfffe
	s_or_b32 exec_lo, exec_lo, s2
	v_mul_lo_u32 v4, v61, s24
	s_delay_alu instid0(VALU_DEP_2)
	v_mul_lo_u32 v9, v60, s25
	s_load_b64 s[26:27], s[18:19], 0x0
	v_mad_co_u64_u32 v[7:8], null, v60, s24, 0
	s_load_b64 s[24:25], s[16:17], 0x0
	s_add_nc_u64 s[20:21], s[20:21], 1
	s_add_nc_u64 s[16:17], s[16:17], 8
	s_wait_alu 0xfffe
	v_cmp_ge_u64_e64 s2, s[20:21], s[10:11]
	s_add_nc_u64 s[18:19], s[18:19], 8
	s_add_nc_u64 s[22:23], s[22:23], 8
	v_add3_u32 v4, v8, v9, v4
	v_sub_co_u32 v5, vcc_lo, v5, v7
	s_wait_alu 0xfffd
	s_delay_alu instid0(VALU_DEP_2) | instskip(SKIP_2) | instid1(VALU_DEP_1)
	v_sub_co_ci_u32_e32 v4, vcc_lo, v6, v4, vcc_lo
	s_and_b32 vcc_lo, exec_lo, s2
	s_wait_kmcnt 0x0
	v_mul_lo_u32 v6, s26, v4
	v_mul_lo_u32 v7, s27, v5
	v_mad_co_u64_u32 v[1:2], null, s26, v5, v[1:2]
	v_mul_lo_u32 v4, s24, v4
	v_mul_lo_u32 v8, s25, v5
	v_mad_co_u64_u32 v[58:59], null, s24, v5, v[58:59]
	s_delay_alu instid0(VALU_DEP_4) | instskip(NEXT) | instid1(VALU_DEP_2)
	v_add3_u32 v2, v7, v2, v6
	v_add3_u32 v59, v8, v59, v4
	s_wait_alu 0xfffe
	s_cbranch_vccnz .LBB0_9
; %bb.7:                                ;   in Loop: Header=BB0_2 Depth=1
	v_dual_mov_b32 v5, v60 :: v_dual_mov_b32 v6, v61
	s_branch .LBB0_2
.LBB0_8:
	v_dual_mov_b32 v59, v2 :: v_dual_mov_b32 v58, v1
	v_dual_mov_b32 v61, v6 :: v_dual_mov_b32 v60, v5
.LBB0_9:
	s_load_b64 s[0:1], s[0:1], 0x28
	v_mul_hi_u32 v3, 0x4924925, v0
	s_lshl_b64 s[10:11], s[10:11], 3
                                        ; implicit-def: $vgpr56
                                        ; implicit-def: $vgpr62
                                        ; implicit-def: $vgpr70
                                        ; implicit-def: $vgpr69
                                        ; implicit-def: $vgpr68
                                        ; implicit-def: $vgpr67
                                        ; implicit-def: $vgpr66
                                        ; implicit-def: $vgpr65
                                        ; implicit-def: $vgpr64
	s_wait_kmcnt 0x0
	v_cmp_gt_u64_e32 vcc_lo, s[0:1], v[60:61]
	v_cmp_le_u64_e64 s0, s[0:1], v[60:61]
	s_delay_alu instid0(VALU_DEP_1)
	s_and_saveexec_b32 s1, s0
	s_wait_alu 0xfffe
	s_xor_b32 s0, exec_lo, s1
; %bb.10:
	v_mul_u32_u24_e32 v1, 56, v3
                                        ; implicit-def: $vgpr3
	s_delay_alu instid0(VALU_DEP_1) | instskip(NEXT) | instid1(VALU_DEP_1)
	v_sub_nc_u32_e32 v56, v0, v1
                                        ; implicit-def: $vgpr0
                                        ; implicit-def: $vgpr1_vgpr2
	v_add_nc_u32_e32 v62, 56, v56
	v_add_nc_u32_e32 v70, 0x70, v56
	;; [unrolled: 1-line block ×7, first 2 shown]
	v_or_b32_e32 v64, 0x1c0, v56
; %bb.11:
	s_wait_alu 0xfffe
	s_or_saveexec_b32 s1, s0
	s_add_nc_u64 s[2:3], s[14:15], s[10:11]
	s_wait_alu 0xfffe
	s_xor_b32 exec_lo, exec_lo, s1
	s_cbranch_execz .LBB0_13
; %bb.12:
	s_add_nc_u64 s[10:11], s[12:13], s[10:11]
	v_lshlrev_b64_e32 v[1:2], 3, v[1:2]
	s_load_b64 s[10:11], s[10:11], 0x0
	s_wait_kmcnt 0x0
	v_mul_lo_u32 v6, s11, v60
	v_mul_lo_u32 v7, s10, v61
	v_mad_co_u64_u32 v[4:5], null, s10, v60, 0
	s_delay_alu instid0(VALU_DEP_1) | instskip(SKIP_1) | instid1(VALU_DEP_2)
	v_add3_u32 v5, v5, v7, v6
	v_mul_u32_u24_e32 v6, 56, v3
	v_lshlrev_b64_e32 v[3:4], 3, v[4:5]
	s_delay_alu instid0(VALU_DEP_2) | instskip(NEXT) | instid1(VALU_DEP_1)
	v_sub_nc_u32_e32 v56, v0, v6
	v_lshlrev_b32_e32 v57, 3, v56
	s_delay_alu instid0(VALU_DEP_3) | instskip(SKIP_1) | instid1(VALU_DEP_4)
	v_add_co_u32 v0, s0, s4, v3
	s_wait_alu 0xf1ff
	v_add_co_ci_u32_e64 v3, s0, s5, v4, s0
	v_add_nc_u32_e32 v62, 56, v56
	s_delay_alu instid0(VALU_DEP_3) | instskip(SKIP_1) | instid1(VALU_DEP_3)
	v_add_co_u32 v0, s0, v0, v1
	s_wait_alu 0xf1ff
	v_add_co_ci_u32_e64 v1, s0, v3, v2, s0
	v_add_nc_u32_e32 v70, 0x70, v56
	s_delay_alu instid0(VALU_DEP_3) | instskip(SKIP_1) | instid1(VALU_DEP_3)
	v_add_co_u32 v0, s0, v0, v57
	s_wait_alu 0xf1ff
	v_add_co_ci_u32_e64 v1, s0, 0, v1, s0
	s_clause 0x1f
	global_load_b64 v[2:3], v[0:1], off
	global_load_b64 v[4:5], v[0:1], off offset:448
	global_load_b64 v[6:7], v[0:1], off offset:896
	;; [unrolled: 1-line block ×31, first 2 shown]
	s_clause 0x2
	global_load_b64 v[81:82], v[0:1], off offset:14336
	global_load_b64 v[83:84], v[0:1], off offset:14784
	;; [unrolled: 1-line block ×3, first 2 shown]
	v_add_nc_u32_e32 v57, 0, v57
	v_add_nc_u32_e32 v69, 0xa8, v56
	;; [unrolled: 1-line block ×6, first 2 shown]
	v_or_b32_e32 v64, 0x1c0, v56
	v_add_nc_u32_e32 v63, 0x400, v57
	v_add_nc_u32_e32 v85, 0x800, v57
	;; [unrolled: 1-line block ×10, first 2 shown]
	s_wait_loadcnt 0x1d
	ds_store_2addr_b64 v63, v[10:11], v[12:13] offset0:96 offset1:152
	ds_store_2addr_b64 v57, v[2:3], v[4:5] offset1:56
	ds_store_2addr_b64 v57, v[6:7], v[8:9] offset0:112 offset1:168
	s_wait_loadcnt 0x1b
	ds_store_2addr_b64 v85, v[14:15], v[16:17] offset0:80 offset1:136
	s_wait_loadcnt 0x19
	;; [unrolled: 2-line block ×14, first 2 shown]
	ds_store_2addr_b64 v93, v[81:82], v[83:84] offset1:56
	s_wait_loadcnt 0x0
	ds_store_b64 v57, v[0:1] offset:15232
.LBB0_13:
	s_or_b32 exec_lo, exec_lo, s1
	v_lshl_add_u32 v89, v56, 3, 0
	s_load_b64 s[2:3], s[2:3], 0x0
	global_wb scope:SCOPE_SE
	s_wait_dscnt 0x0
	s_wait_kmcnt 0x0
	s_barrier_signal -1
	s_barrier_wait -1
	v_add_nc_u32_e32 v48, 0x1c00, v89
	v_add_nc_u32_e32 v12, 0x800, v89
	;; [unrolled: 1-line block ×3, first 2 shown]
	global_inv scope:SCOPE_SE
	ds_load_2addr_b64 v[4:7], v89 offset1:56
	ds_load_2addr_b64 v[8:11], v48 offset0:84 offset1:140
	ds_load_2addr_b64 v[0:3], v12 offset0:192 offset1:234
	ds_load_2addr_b64 v[13:16], v81 offset0:148 offset1:190
	v_add_nc_u32_e32 v63, 0x1000, v89
	ds_load_2addr_b64 v[17:20], v89 offset0:112 offset1:168
	v_add_nc_u32_e32 v96, 0x2c00, v89
	v_add_nc_u32_e32 v98, 0x1800, v89
	;; [unrolled: 1-line block ×3, first 2 shown]
	v_lshl_add_u32 v57, v56, 5, 0
	s_mov_b32 s1, exec_lo
	s_wait_dscnt 0x3
	v_dual_sub_f32 v46, v4, v8 :: v_dual_sub_f32 v47, v5, v9
	s_wait_dscnt 0x1
	v_dual_sub_f32 v8, v3, v16 :: v_dual_add_nc_u32 v77, 0x2000, v89
	v_sub_f32_e32 v55, v7, v11
	v_sub_f32_e32 v9, v2, v15
	v_fma_f32 v5, v5, 2.0, -v47
	s_delay_alu instid0(VALU_DEP_4) | instskip(SKIP_3) | instid1(VALU_DEP_4)
	v_fma_f32 v3, v3, 2.0, -v8
	v_dual_add_f32 v8, v46, v8 :: v_dual_add_nc_u32 v97, 0x3000, v89
	v_fma_f32 v4, v4, 2.0, -v46
	v_fma_f32 v2, v2, 2.0, -v9
	v_sub_f32_e32 v16, v5, v3
	ds_load_2addr_b64 v[21:24], v63 offset0:34 offset1:90
	ds_load_2addr_b64 v[25:28], v96 offset0:118 offset1:174
	;; [unrolled: 1-line block ×5, first 2 shown]
	v_add_nc_u32_e32 v41, 0x400, v89
	v_add_nc_u32_e32 v99, 0x3800, v89
	v_sub_f32_e32 v15, v4, v2
	v_fma_f32 v54, v5, 2.0, -v16
	v_fma_f32 v7, v7, 2.0, -v55
	s_delay_alu instid0(VALU_DEP_3)
	v_fma_f32 v53, v4, 2.0, -v15
	s_wait_dscnt 0x3
	v_sub_f32_e32 v26, v22, v26
	ds_load_2addr_b64 v[41:44], v41 offset0:96 offset1:152
	ds_load_2addr_b64 v[49:52], v77 offset0:180 offset1:236
	;; [unrolled: 1-line block ×3, first 2 shown]
	v_sub_f32_e32 v9, v47, v9
	ds_load_2addr_b64 v[82:85], v45 offset0:86 offset1:142
	v_fma_f32 v45, v46, 2.0, -v8
	v_sub_f32_e32 v25, v21, v25
	ds_load_2addr_b64 v[90:93], v12 offset0:80 offset1:136
	ds_load_2addr_b64 v[100:103], v81 offset0:36 offset1:92
	;; [unrolled: 1-line block ×4, first 2 shown]
	v_fma_f32 v11, v22, 2.0, -v26
	global_wb scope:SCOPE_SE
	s_wait_dscnt 0x0
	s_barrier_signal -1
	s_barrier_wait -1
	global_inv scope:SCOPE_SE
	v_dual_sub_f32 v11, v7, v11 :: v_dual_sub_f32 v50, v42, v50
	v_fma_f32 v46, v47, 2.0, -v9
	v_dual_sub_f32 v47, v6, v10 :: v_dual_sub_f32 v76, v44, v52
	v_fma_f32 v10, v21, 2.0, -v25
	v_sub_f32_e32 v22, v55, v25
	ds_store_2addr_b64 v57, v[53:54], v[45:46] offset1:1
	ds_store_2addr_b64 v57, v[15:16], v[8:9] offset0:2 offset1:3
	v_fma_f32 v6, v6, 2.0, -v47
	v_dual_add_f32 v21, v47, v26 :: v_dual_sub_f32 v8, v17, v29
	v_fma_f32 v16, v7, 2.0, -v11
	s_delay_alu instid0(VALU_DEP_3)
	v_dual_sub_f32 v7, v24, v28 :: v_dual_sub_f32 v10, v6, v10
	v_dual_sub_f32 v9, v18, v30 :: v_dual_sub_f32 v80, v73, v84
	;; [unrolled: 1-line block ×5, first 2 shown]
	v_sub_f32_e32 v78, v71, v82
	v_fma_f32 v15, v6, 2.0, -v10
	v_sub_f32_e32 v6, v23, v27
	v_fma_f32 v26, v55, 2.0, -v22
	v_fma_f32 v24, v24, 2.0, -v7
	;; [unrolled: 1-line block ×4, first 2 shown]
	v_dual_sub_f32 v55, v35, v39 :: v_dual_sub_f32 v86, v92, v102
	s_delay_alu instid0(VALU_DEP_3)
	v_dual_sub_f32 v49, v41, v49 :: v_dual_sub_f32 v18, v28, v24
	v_dual_sub_f32 v75, v43, v51 :: v_dual_sub_f32 v20, v9, v6
	v_fma_f32 v29, v33, 2.0, -v32
	v_fma_f32 v30, v34, 2.0, -v31
	;; [unrolled: 1-line block ×4, first 2 shown]
	v_dual_sub_f32 v79, v72, v83 :: v_dual_sub_f32 v82, v74, v85
	s_delay_alu instid0(VALU_DEP_4) | instskip(SKIP_1) | instid1(VALU_DEP_4)
	v_sub_f32_e32 v30, v54, v30
	v_fma_f32 v53, v19, 2.0, -v45
	v_dual_sub_f32 v83, v90, v100 :: v_dual_sub_f32 v34, v40, v34
	v_fma_f32 v23, v23, 2.0, -v6
	v_fma_f32 v27, v17, 2.0, -v8
	;; [unrolled: 1-line block ×6, first 2 shown]
	v_dual_sub_f32 v87, v93, v103 :: v_dual_sub_f32 v32, v46, v32
	v_fma_f32 v43, v71, 2.0, -v78
	v_fma_f32 v44, v72, 2.0, -v79
	;; [unrolled: 1-line block ×6, first 2 shown]
	v_dual_sub_f32 v29, v53, v29 :: v_dual_sub_f32 v42, v50, v55
	v_add_f32_e32 v31, v45, v31
	v_add_f32_e32 v41, v49, v57
	v_sub_f32_e32 v55, v2, v104
	v_sub_f32_e32 v57, v3, v105
	v_dual_sub_f32 v17, v27, v23 :: v_dual_sub_f32 v44, v52, v44
	v_add_f32_e32 v19, v8, v7
	v_fma_f32 v25, v47, 2.0, -v21
	v_lshl_add_u32 v47, v62, 5, 0
	v_fma_f32 v90, v92, 2.0, -v86
	v_fma_f32 v91, v93, 2.0, -v87
	v_dual_sub_f32 v33, v39, v33 :: v_dual_sub_f32 v74, v88, v72
	v_fma_f32 v38, v46, 2.0, -v32
	v_sub_f32_e32 v46, v76, v78
	v_fma_f32 v37, v45, 2.0, -v31
	v_dual_add_f32 v45, v75, v79 :: v_dual_add_f32 v78, v86, v57
	v_fma_f32 v72, v3, 2.0, -v57
	v_sub_f32_e32 v73, v85, v71
	v_fma_f32 v71, v2, 2.0, -v55
	v_fma_f32 v23, v27, 2.0, -v17
	;; [unrolled: 1-line block ×4, first 2 shown]
	v_dual_sub_f32 v43, v51, v43 :: v_dual_sub_f32 v6, v0, v13
	v_sub_f32_e32 v7, v1, v14
	v_add_f32_e32 v2, v83, v82
	v_fma_f32 v27, v8, 2.0, -v19
	v_dual_sub_f32 v8, v4, v106 :: v_dual_sub_f32 v9, v5, v107
	v_sub_f32_e32 v3, v84, v80
	ds_store_2addr_b64 v47, v[15:16], v[25:26] offset1:1
	ds_store_2addr_b64 v47, v[10:11], v[21:22] offset0:2 offset1:3
	v_lshl_add_u32 v10, v70, 5, 0
	v_fma_f32 v35, v53, 2.0, -v29
	v_fma_f32 v36, v54, 2.0, -v30
	;; [unrolled: 1-line block ×4, first 2 shown]
	v_dual_sub_f32 v75, v90, v71 :: v_dual_sub_f32 v76, v91, v72
	v_sub_f32_e32 v72, v7, v8
	v_sub_f32_e32 v79, v87, v55
	v_lshl_add_u32 v11, v69, 5, 0
	v_fma_f32 v39, v39, 2.0, -v33
	v_fma_f32 v40, v40, 2.0, -v34
	;; [unrolled: 1-line block ×6, first 2 shown]
	v_add_f32_e32 v71, v6, v9
	v_lshl_add_u32 v15, v68, 5, 0
	v_lshl_add_u32 v57, v67, 5, 0
	v_fma_f32 v13, v85, 2.0, -v73
	v_fma_f32 v14, v88, 2.0, -v74
	;; [unrolled: 1-line block ×4, first 2 shown]
	ds_store_2addr_b64 v10, v[23:24], v[27:28] offset1:1
	ds_store_2addr_b64 v10, v[17:18], v[19:20] offset0:2 offset1:3
	ds_store_2addr_b64 v11, v[35:36], v[37:38] offset1:1
	ds_store_2addr_b64 v11, v[29:30], v[31:32] offset0:2 offset1:3
	v_lshl_add_u32 v10, v66, 5, 0
	v_fma_f32 v84, v90, 2.0, -v75
	v_fma_f32 v85, v91, 2.0, -v76
	;; [unrolled: 1-line block ×4, first 2 shown]
	v_lshl_add_u32 v11, v65, 5, 0
	ds_store_2addr_b64 v15, v[39:40], v[49:50] offset1:1
	ds_store_2addr_b64 v15, v[33:34], v[41:42] offset0:2 offset1:3
	ds_store_2addr_b64 v57, v[51:52], v[53:54] offset1:1
	ds_store_2addr_b64 v57, v[43:44], v[45:46] offset0:2 offset1:3
	;; [unrolled: 2-line block ×4, first 2 shown]
	v_cmpx_gt_u32_e32 42, v56
	s_cbranch_execz .LBB0_15
; %bb.14:
	v_fma_f32 v10, v1, 2.0, -v7
	v_fma_f32 v1, v5, 2.0, -v9
	;; [unrolled: 1-line block ×6, first 2 shown]
	v_sub_f32_e32 v1, v10, v1
	v_lshl_add_u32 v6, v64, 5, 0
	v_sub_f32_e32 v0, v9, v0
	s_delay_alu instid0(VALU_DEP_3) | instskip(NEXT) | instid1(VALU_DEP_2)
	v_fma_f32 v5, v10, 2.0, -v1
	v_fma_f32 v4, v9, 2.0, -v0
	ds_store_2addr_b64 v6, v[4:5], v[2:3] offset1:1
	ds_store_2addr_b64 v6, v[0:1], v[71:72] offset0:2 offset1:3
.LBB0_15:
	s_wait_alu 0xfffe
	s_or_b32 exec_lo, exec_lo, s1
	v_and_b32_e32 v79, 3, v56
	global_wb scope:SCOPE_SE
	s_wait_dscnt 0x0
	s_barrier_signal -1
	s_barrier_wait -1
	global_inv scope:SCOPE_SE
	v_mul_u32_u24_e32 v0, 6, v79
	v_mad_i32_i24 v82, 0xffffffe8, v67, v57
	v_lshrrev_b32_e32 v73, 2, v56
	v_lshl_add_u32 v92, v70, 3, 0
	v_lshl_add_u32 v93, v62, 3, 0
	v_lshlrev_b32_e32 v0, 3, v0
	v_lshl_add_u32 v90, v68, 3, 0
	v_mul_u32_u24_e32 v73, 28, v73
	v_lshl_add_u32 v91, v69, 3, 0
	v_cmp_gt_u32_e64 s0, 28, v56
	s_clause 0x2
	global_load_b128 v[24:27], v0, s[8:9]
	global_load_b128 v[4:7], v0, s[8:9] offset:16
	global_load_b128 v[0:3], v0, s[8:9] offset:32
	ds_load_2addr_b64 v[44:47], v63 offset0:48 offset1:104
	ds_load_2addr_b64 v[40:43], v12 offset0:80 offset1:136
	;; [unrolled: 1-line block ×11, first 2 shown]
	ds_load_b64 v[94:95], v82
	ds_load_2addr_b64 v[85:88], v99 offset1:56
	ds_load_2addr_b64 v[100:103], v97 offset0:32 offset1:88
	s_wait_loadcnt_dscnt 0x20d
	v_dual_mul_f32 v119, v44, v27 :: v_dual_add_nc_u32 v78, 0x2400, v89
	ds_load_2addr_b64 v[104:107], v78 offset0:80 offset1:136
	ds_load_b64 v[108:109], v92
	ds_load_b64 v[110:111], v93
	v_mul_f32_e32 v118, v45, v27
	v_or_b32_e32 v80, v73, v79
	s_wait_dscnt 0x5
	v_mul_f32_e32 v117, v95, v25
	v_dual_mul_f32 v120, v41, v25 :: v_dual_mul_f32 v123, v46, v27
	v_dual_mul_f32 v121, v40, v25 :: v_dual_mul_f32 v122, v47, v27
	v_lshl_add_u32 v116, v80, 3, 0
	v_dual_mul_f32 v124, v43, v25 :: v_dual_mul_f32 v127, v36, v27
	v_dual_mul_f32 v125, v42, v25 :: v_dual_mul_f32 v126, v37, v27
	;; [unrolled: 1-line block ×4, first 2 shown]
	v_mul_f32_e32 v80, v35, v25
	s_wait_loadcnt 0x1
	v_dual_mul_f32 v130, v34, v25 :: v_dual_mul_f32 v135, v21, v7
	v_dual_mul_f32 v131, v94, v25 :: v_dual_mul_f32 v132, v28, v27
	v_mul_f32_e32 v25, v29, v27
	ds_load_b64 v[112:113], v89 offset:15232
	ds_load_b64 v[114:115], v89
	ds_load_b64 v[73:74], v90
	;; [unrolled: 1-line block ×3, first 2 shown]
	v_dual_mul_f32 v133, v31, v5 :: v_dual_fmac_f32 v118, v44, v26
	v_mul_f32_e32 v134, v30, v5
	v_fma_f32 v44, v45, v26, -v119
	v_fmac_f32_e32 v122, v46, v26
	v_fma_f32 v45, v47, v26, -v123
	v_dual_mul_f32 v123, v17, v5 :: v_dual_mul_f32 v46, v20, v7
	v_dual_mul_f32 v47, v23, v7 :: v_dual_mul_f32 v136, v49, v5
	v_fmac_f32_e32 v117, v94, v24
	v_mul_f32_e32 v27, v51, v5
	s_wait_loadcnt 0x0
	v_dual_fmac_f32 v25, v28, v26 :: v_dual_mul_f32 v94, v15, v3
	v_mul_f32_e32 v28, v13, v3
	v_dual_mul_f32 v119, v22, v7 :: v_dual_fmac_f32 v120, v40, v24
	v_fma_f32 v40, v41, v24, -v121
	v_fmac_f32_e32 v124, v42, v24
	v_fma_f32 v41, v43, v24, -v125
	s_wait_dscnt 0x6
	v_dual_mul_f32 v125, v105, v7 :: v_dual_mul_f32 v42, v16, v5
	v_mul_f32_e32 v43, v19, v5
	v_dual_mul_f32 v121, v18, v5 :: v_dual_fmac_f32 v126, v36, v26
	v_fma_f32 v36, v37, v26, -v127
	v_dual_fmac_f32 v84, v38, v26 :: v_dual_mul_f32 v37, v104, v7
	v_fma_f32 v127, v39, v26, -v129
	v_mul_f32_e32 v129, v107, v7
	v_dual_mul_f32 v38, v106, v7 :: v_dual_fmac_f32 v83, v32, v24
	v_fma_f32 v128, v33, v24, -v128
	v_dual_fmac_f32 v80, v34, v24 :: v_dual_mul_f32 v33, v48, v5
	v_fma_f32 v32, v35, v24, -v130
	v_dual_mul_f32 v34, v50, v5 :: v_dual_mul_f32 v5, v9, v7
	v_fma_f32 v24, v95, v24, -v131
	v_mul_f32_e32 v35, v8, v7
	v_mul_f32_e32 v39, v11, v1
	v_fma_f32 v7, v29, v26, -v132
	v_dual_mul_f32 v26, v10, v1 :: v_dual_mul_f32 v29, v12, v3
	v_dual_fmac_f32 v133, v30, v4 :: v_dual_mul_f32 v130, v52, v1
	v_fma_f32 v30, v31, v4, -v134
	v_dual_mul_f32 v131, v55, v1 :: v_dual_fmac_f32 v28, v12, v2
	v_fmac_f32_e32 v135, v20, v6
	v_fma_f32 v20, v21, v6, -v46
	v_fmac_f32_e32 v47, v22, v6
	v_mul_f32_e32 v22, v54, v1
	v_add_f32_e32 v12, v117, v28
	v_dual_fmac_f32 v123, v16, v4 :: v_dual_fmac_f32 v94, v14, v2
	v_dual_mul_f32 v31, v14, v3 :: v_dual_mul_f32 v132, v100, v1
	v_dual_mul_f32 v95, v53, v1 :: v_dual_fmac_f32 v136, v48, v4
	v_fma_f32 v21, v23, v6, -v119
	v_mul_f32_e32 v46, v85, v3
	v_mul_f32_e32 v119, v88, v3
	v_fma_f32 v42, v17, v4, -v42
	v_dual_mul_f32 v16, v103, v1 :: v_dual_fmac_f32 v43, v18, v4
	v_add_f32_e32 v14, v133, v135
	v_fma_f32 v18, v19, v4, -v121
	s_delay_alu instid0(VALU_DEP_3)
	v_dual_mul_f32 v19, v87, v3 :: v_dual_fmac_f32 v16, v102, v0
	v_mul_f32_e32 v121, v101, v1
	v_fma_f32 v48, v49, v4, -v33
	v_fmac_f32_e32 v27, v50, v4
	v_fmac_f32_e32 v39, v10, v0
	v_fma_f32 v10, v55, v0, -v22
	v_add_f32_e32 v22, v30, v20
	v_sub_f32_e32 v20, v20, v30
	v_add_f32_e32 v30, v120, v94
	v_fmac_f32_e32 v125, v104, v6
	v_fma_f32 v104, v107, v6, -v38
	v_mul_f32_e32 v38, v102, v1
	v_fma_f32 v1, v51, v4, -v34
	v_fma_f32 v4, v11, v0, -v26
	v_dual_mul_f32 v23, v86, v3 :: v_dual_sub_f32 v28, v117, v28
	v_fma_f32 v37, v105, v6, -v37
	v_fmac_f32_e32 v129, v106, v6
	s_wait_dscnt 0x3
	v_mul_f32_e32 v17, v113, v3
	v_mul_f32_e32 v105, v112, v3
	v_fma_f32 v3, v9, v6, -v35
	v_fmac_f32_e32 v131, v54, v0
	v_fma_f32 v26, v88, v2, -v19
	v_add_f32_e32 v19, v44, v4
	v_sub_f32_e32 v4, v44, v4
	v_add_f32_e32 v51, v36, v10
	v_sub_f32_e32 v10, v36, v10
	v_dual_fmac_f32 v5, v8, v6 :: v_dual_add_f32 v44, v126, v131
	v_fma_f32 v6, v13, v2, -v29
	v_fma_f32 v8, v15, v2, -v31
	;; [unrolled: 1-line block ×3, first 2 shown]
	v_fmac_f32_e32 v23, v85, v2
	v_fma_f32 v11, v86, v2, -v46
	v_fmac_f32_e32 v95, v52, v0
	v_add_f32_e32 v13, v118, v39
	v_dual_sub_f32 v29, v135, v133 :: v_dual_sub_f32 v88, v20, v4
	v_add_f32_e32 v15, v24, v6
	v_sub_f32_e32 v6, v24, v6
	v_dual_sub_f32 v24, v118, v39 :: v_dual_fmac_f32 v119, v87, v2
	v_add_f32_e32 v52, v18, v37
	v_fma_f32 v46, v101, v0, -v132
	v_dual_fmac_f32 v17, v112, v2 :: v_dual_sub_f32 v36, v125, v43
	v_dual_add_f32 v34, v40, v8 :: v_dual_add_f32 v49, v43, v125
	v_dual_add_f32 v50, v41, v11 :: v_dual_fmac_f32 v121, v100, v0
	v_fma_f32 v0, v103, v0, -v38
	v_add_f32_e32 v38, v42, v21
	v_sub_f32_e32 v8, v40, v8
	v_sub_f32_e32 v40, v122, v95
	v_dual_add_f32 v39, v124, v23 :: v_dual_sub_f32 v18, v37, v18
	v_add_f32_e32 v37, v13, v12
	v_dual_sub_f32 v86, v29, v24 :: v_dual_add_f32 v31, v122, v95
	v_dual_sub_f32 v54, v15, v22 :: v_dual_add_f32 v35, v45, v9
	v_add_f32_e32 v87, v20, v4
	v_sub_f32_e32 v4, v4, v6
	v_dual_sub_f32 v43, v12, v14 :: v_dual_sub_f32 v12, v13, v12
	v_dual_sub_f32 v21, v21, v42 :: v_dual_add_f32 v42, v19, v15
	v_sub_f32_e32 v9, v45, v9
	v_sub_f32_e32 v45, v47, v123
	v_dual_add_f32 v33, v123, v47 :: v_dual_sub_f32 v20, v6, v20
	v_dual_sub_f32 v23, v124, v23 :: v_dual_sub_f32 v100, v31, v30
	v_sub_f32_e32 v11, v41, v11
	v_sub_f32_e32 v47, v14, v13
	v_dual_add_f32 v85, v29, v24 :: v_dual_add_f32 v118, v18, v10
	v_add_f32_e32 v102, v45, v40
	v_sub_f32_e32 v112, v51, v50
	v_dual_sub_f32 v13, v19, v15 :: v_dual_add_f32 v14, v14, v37
	v_dual_sub_f32 v15, v24, v28 :: v_dual_add_f32 v24, v35, v34
	v_sub_f32_e32 v53, v120, v94
	v_fma_f32 v2, v113, v2, -v105
	v_sub_f32_e32 v55, v22, v19
	v_dual_add_f32 v19, v31, v30 :: v_dual_add_f32 v94, v44, v39
	v_sub_f32_e32 v101, v35, v34
	v_add_f32_e32 v105, v21, v9
	v_sub_f32_e32 v106, v21, v9
	v_sub_f32_e32 v107, v9, v8
	;; [unrolled: 1-line block ×6, first 2 shown]
	v_dual_add_f32 v18, v22, v42 :: v_dual_sub_f32 v103, v45, v40
	v_dual_sub_f32 v40, v40, v53 :: v_dual_sub_f32 v41, v126, v131
	v_dual_sub_f32 v34, v53, v45 :: v_dual_sub_f32 v45, v44, v39
	v_mul_f32_e32 v30, 0x3f4a47b2, v30
	v_dual_sub_f32 v44, v49, v44 :: v_dual_add_f32 v95, v51, v50
	v_dual_sub_f32 v29, v28, v29 :: v_dual_sub_f32 v50, v50, v52
	v_dual_sub_f32 v31, v33, v31 :: v_dual_add_f32 v6, v87, v6
	v_sub_f32_e32 v35, v38, v35
	v_dual_sub_f32 v21, v8, v21 :: v_dual_add_f32 v24, v38, v24
	v_sub_f32_e32 v39, v39, v49
	v_dual_sub_f32 v51, v52, v51 :: v_dual_mul_f32 v50, 0x3f4a47b2, v50
	v_dual_sub_f32 v117, v36, v41 :: v_dual_add_f32 v22, v85, v28
	v_dual_mul_f32 v28, 0x3f08b237, v86 :: v_dual_add_f32 v113, v36, v41
	v_dual_sub_f32 v36, v23, v36 :: v_dual_sub_f32 v41, v41, v23
	v_dual_mul_f32 v120, 0x3f08b237, v120 :: v_dual_sub_f32 v123, v10, v11
	v_mul_f32_e32 v10, 0x3f4a47b2, v43
	v_mul_f32_e32 v43, 0x3d64c772, v47
	;; [unrolled: 1-line block ×3, first 2 shown]
	v_add_f32_e32 v19, v33, v19
	v_add_f32_e32 v33, v49, v94
	v_dual_add_f32 v49, v52, v95 :: v_dual_add_f32 v52, v105, v8
	s_wait_dscnt 0x2
	v_add_f32_e32 v8, v14, v114
	v_fmamk_f32 v114, v29, 0xbeae86e6, v28
	v_mul_f32_e32 v37, 0x3f4a47b2, v54
	v_mul_f32_e32 v42, 0x3f08b237, v88
	;; [unrolled: 1-line block ×3, first 2 shown]
	v_fma_f32 v125, 0xbf3bfb3b, v12, -v10
	v_fmamk_f32 v14, v14, 0xbf955555, v8
	v_dual_mul_f32 v95, 0xbf5ff5aa, v40 :: v_dual_add_f32 v38, v102, v53
	v_mul_f32_e32 v94, 0x3d64c772, v35
	v_add_f32_e32 v105, v113, v23
	v_fma_f32 v43, 0x3f3bfb3b, v12, -v43
	v_mul_f32_e32 v53, 0x3f08b237, v103
	v_mul_f32_e32 v103, 0x3f4a47b2, v9
	v_dual_add_f32 v9, v18, v115 :: v_dual_fmac_f32 v114, 0xbee1c552, v22
	v_fma_f32 v28, 0xbf5ff5aa, v15, -v28
	v_fma_f32 v29, 0x3eae86e6, v29, -v54
	;; [unrolled: 1-line block ×5, first 2 shown]
	v_fmamk_f32 v30, v35, 0x3d64c772, v30
	v_dual_mul_f32 v87, 0x3f08b237, v106 :: v_dual_add_f32 v106, v118, v11
	v_dual_mul_f32 v118, 0xbf5ff5aa, v41 :: v_dual_mul_f32 v85, 0xbf5ff5aa, v4
	v_mul_f32_e32 v124, 0xbf5ff5aa, v123
	v_fma_f32 v4, 0xbf5ff5aa, v4, -v42
	v_mul_f32_e32 v88, 0x3d64c772, v31
	v_dual_mul_f32 v102, 0xbf5ff5aa, v107 :: v_dual_add_f32 v11, v111, v24
	v_fmamk_f32 v18, v18, 0xbf955555, v9
	v_add_f32_e32 v12, v108, v33
	v_fmac_f32_e32 v28, 0xbee1c552, v22
	v_fmac_f32_e32 v29, 0xbee1c552, v22
	;; [unrolled: 1-line block ×3, first 2 shown]
	v_dual_add_f32 v22, v43, v14 :: v_dual_fmamk_f32 v115, v20, 0xbeae86e6, v42
	v_fmamk_f32 v47, v47, 0x3d64c772, v10
	v_fma_f32 v42, 0x3eae86e6, v20, -v85
	v_fma_f32 v20, 0xbf3bfb3b, v13, -v37
	v_dual_add_f32 v10, v110, v19 :: v_dual_add_f32 v13, v109, v49
	v_fma_f32 v54, 0x3f3bfb3b, v101, -v94
	s_delay_alu instid0(VALU_DEP_4)
	v_fmac_f32_e32 v42, 0xbee1c552, v6
	v_fma_f32 v40, 0xbf5ff5aa, v40, -v53
	v_dual_add_f32 v35, v20, v18 :: v_dual_sub_f32 v20, v22, v4
	v_fmac_f32_e32 v115, 0xbee1c552, v6
	v_fmamk_f32 v53, v34, 0xbeae86e6, v53
	v_dual_fmamk_f32 v6, v19, 0xbf955555, v10 :: v_dual_fmamk_f32 v19, v24, 0xbf955555, v11
	v_dual_add_f32 v34, v125, v14 :: v_dual_fmamk_f32 v55, v55, 0x3d64c772, v37
	v_fma_f32 v37, 0x3f3bfb3b, v100, -v88
	v_fma_f32 v88, 0x3eae86e6, v21, -v102
	v_mul_f32_e32 v23, 0x3f4a47b2, v39
	v_mul_f32_e32 v39, 0x3d64c772, v44
	v_fma_f32 v94, 0xbf3bfb3b, v100, -v103
	v_fma_f32 v108, 0x3eae86e6, v36, -v118
	v_fmac_f32_e32 v88, 0xbee1c552, v52
	v_fmamk_f32 v100, v44, 0x3d64c772, v23
	v_mul_f32_e32 v117, 0x3f08b237, v117
	v_fmac_f32_e32 v40, 0xbee1c552, v38
	v_fmac_f32_e32 v86, 0xbee1c552, v38
	v_add_f32_e32 v44, v30, v19
	v_fma_f32 v85, 0xbf5ff5aa, v107, -v87
	v_dual_fmamk_f32 v107, v36, 0xbeae86e6, v117 :: v_dual_add_f32 v36, v37, v6
	v_add_f32_e32 v37, v54, v19
	v_fmamk_f32 v87, v21, 0xbeae86e6, v87
	v_fmamk_f32 v21, v31, 0x3d64c772, v103
	v_fma_f32 v101, 0x3f3bfb3b, v45, -v39
	v_dual_fmamk_f32 v24, v33, 0xbf955555, v12 :: v_dual_add_f32 v39, v94, v6
	s_delay_alu instid0(VALU_DEP_3)
	v_dual_mul_f32 v113, 0x3d64c772, v51 :: v_dual_add_f32 v6, v21, v6
	v_fma_f32 v45, 0xbf3bfb3b, v45, -v23
	v_add_f32_e32 v23, v15, v18
	v_fmac_f32_e32 v85, 0xbee1c552, v52
	global_wb scope:SCOPE_SE
	s_wait_dscnt 0x0
	s_barrier_signal -1
	s_barrier_wait -1
	v_add_f32_e32 v21, v28, v23
	v_dual_sub_f32 v23, v23, v28 :: v_dual_sub_f32 v28, v34, v42
	v_add_f32_e32 v33, v55, v18
	v_add_f32_e32 v18, v42, v34
	v_dual_add_f32 v34, v40, v37 :: v_dual_fmac_f32 v87, 0xbee1c552, v52
	v_add_f32_e32 v22, v4, v22
	v_add_f32_e32 v31, v47, v14
	v_fma_f32 v4, 0xbf5ff5aa, v123, -v120
	global_inv scope:SCOPE_SE
	v_sub_f32_e32 v43, v6, v87
	v_fma_f32 v102, 0x3f3bfb3b, v112, -v113
	v_add_f32_e32 v14, v115, v31
	v_fma_f32 v103, 0xbf5ff5aa, v41, -v117
	v_add_f32_e32 v41, v95, v19
	v_dual_sub_f32 v30, v31, v115 :: v_dual_fmac_f32 v53, 0xbee1c552, v38
	v_dual_add_f32 v31, v114, v33 :: v_dual_fmac_f32 v4, 0xbee1c552, v106
	v_dual_fmac_f32 v108, 0xbee1c552, v105 :: v_dual_add_f32 v47, v128, v26
	s_delay_alu instid0(VALU_DEP_3)
	v_sub_f32_e32 v42, v44, v53
	v_sub_f32_e32 v19, v35, v29
	v_dual_fmamk_f32 v51, v51, 0x3d64c772, v50 :: v_dual_sub_f32 v38, v41, v86
	v_sub_f32_e32 v15, v33, v114
	v_add_f32_e32 v29, v29, v35
	v_sub_f32_e32 v33, v36, v85
	v_add_f32_e32 v35, v85, v36
	v_sub_f32_e32 v36, v37, v40
	v_dual_add_f32 v40, v86, v41 :: v_dual_add_f32 v41, v87, v6
	v_fmamk_f32 v6, v122, 0xbeae86e6, v120
	v_fma_f32 v50, 0xbf3bfb3b, v112, -v50
	v_sub_f32_e32 v54, v129, v136
	v_add_f32_e32 v85, v7, v0
	v_add_f32_e32 v86, v27, v5
	v_fmac_f32_e32 v6, 0xbee1c552, v106
	ds_store_2addr_b64 v116, v[8:9], v[14:15] offset1:4
	ds_store_2addr_b64 v116, v[18:19], v[20:21] offset0:8 offset1:12
	ds_store_2addr_b64 v116, v[22:23], v[28:29] offset0:16 offset1:20
	ds_store_b64 v116, v[30:31] offset:192
	v_fmamk_f32 v8, v49, 0xbf955555, v13
	v_fma_f32 v20, 0x3eae86e6, v122, -v124
	v_add_f32_e32 v14, v101, v24
	v_add_f32_e32 v28, v100, v24
	;; [unrolled: 1-line block ×6, first 2 shown]
	v_dual_fmac_f32 v20, 0xbee1c552, v106 :: v_dual_add_f32 v37, v88, v39
	v_sub_f32_e32 v39, v39, v88
	v_sub_f32_e32 v8, v14, v4
	v_add_f32_e32 v14, v4, v14
	v_dual_add_f32 v4, v83, v119 :: v_dual_add_f32 v45, v84, v121
	v_dual_add_f32 v50, v136, v129 :: v_dual_add_f32 v49, v127, v46
	v_fmac_f32_e32 v107, 0xbee1c552, v105
	s_delay_alu instid0(VALU_DEP_3) | instskip(SKIP_3) | instid1(VALU_DEP_4)
	v_dual_add_f32 v18, v20, v21 :: v_dual_add_f32 v23, v45, v4
	v_fmac_f32_e32 v103, 0xbee1c552, v105
	v_dual_sub_f32 v19, v22, v108 :: v_dual_sub_f32 v46, v127, v46
	v_sub_f32_e32 v20, v21, v20
	v_add_f32_e32 v52, v50, v23
	v_add_f32_e32 v44, v53, v44
	;; [unrolled: 1-line block ×3, first 2 shown]
	v_sub_f32_e32 v5, v5, v27
	v_sub_f32_e32 v1, v3, v1
	v_add_f32_e32 v30, v75, v52
	v_dual_sub_f32 v55, v45, v4 :: v_dual_sub_f32 v4, v4, v50
	v_dual_add_f32 v21, v108, v22 :: v_dual_add_f32 v22, v6, v28
	v_sub_f32_e32 v28, v28, v6
	v_sub_f32_e32 v6, v83, v119
	s_delay_alu instid0(VALU_DEP_4)
	v_mul_f32_e32 v4, 0x3f4a47b2, v4
	v_add_f32_e32 v51, v48, v104
	v_dual_add_f32 v29, v49, v47 :: v_dual_sub_f32 v48, v104, v48
	v_add_f32_e32 v9, v103, v15
	v_sub_f32_e32 v15, v15, v103
	v_sub_f32_e32 v23, v24, v107
	v_dual_sub_f32 v45, v50, v45 :: v_dual_sub_f32 v50, v49, v47
	v_add_f32_e32 v53, v51, v29
	v_dual_add_f32 v29, v107, v24 :: v_dual_sub_f32 v24, v128, v26
	v_dual_sub_f32 v26, v84, v121 :: v_dual_sub_f32 v47, v47, v51
	v_dual_sub_f32 v49, v51, v49 :: v_dual_fmamk_f32 v52, v52, 0xbf955555, v30
	v_sub_f32_e32 v27, v87, v85
	s_delay_alu instid0(VALU_DEP_3) | instskip(SKIP_3) | instid1(VALU_DEP_4)
	v_add_f32_e32 v75, v54, v26
	v_sub_f32_e32 v51, v54, v26
	v_dual_sub_f32 v54, v6, v54 :: v_dual_add_f32 v31, v76, v53
	v_sub_f32_e32 v26, v26, v6
	v_add_f32_e32 v6, v75, v6
	v_add_f32_e32 v75, v48, v46
	v_sub_f32_e32 v76, v48, v46
	v_sub_f32_e32 v48, v24, v48
	v_dual_sub_f32 v46, v46, v24 :: v_dual_mul_f32 v83, 0x3d64c772, v45
	s_delay_alu instid0(VALU_DEP_4) | instskip(SKIP_3) | instid1(VALU_DEP_4)
	v_dual_add_f32 v24, v75, v24 :: v_dual_fmamk_f32 v45, v45, 0x3d64c772, v4
	v_mul_f32_e32 v75, 0x3d64c772, v49
	v_fma_f32 v4, 0xbf3bfb3b, v55, -v4
	v_mul_f32_e32 v51, 0x3f08b237, v51
	v_dual_mul_f32 v47, 0x3f4a47b2, v47 :: v_dual_add_f32 v84, v45, v52
	v_fma_f32 v83, 0x3f3bfb3b, v55, -v83
	s_delay_alu instid0(VALU_DEP_4)
	v_add_f32_e32 v4, v4, v52
	v_fma_f32 v55, 0x3f3bfb3b, v50, -v75
	v_mul_f32_e32 v75, 0xbf5ff5aa, v26
	v_fma_f32 v26, 0xbf5ff5aa, v26, -v51
	v_lshl_add_u32 v94, v65, 3, 0
	v_lshl_add_u32 v95, v66, 3, 0
	s_delay_alu instid0(VALU_DEP_4) | instskip(NEXT) | instid1(VALU_DEP_4)
	v_fma_f32 v75, 0x3eae86e6, v54, -v75
	v_fmac_f32_e32 v26, 0xbee1c552, v6
	v_fmamk_f32 v49, v49, 0x3d64c772, v47
	v_fma_f32 v47, 0xbf3bfb3b, v50, -v47
	v_mul_f32_e32 v50, 0x3f08b237, v76
	v_fmamk_f32 v51, v54, 0xbeae86e6, v51
	v_mul_f32_e32 v54, 0xbf5ff5aa, v46
	v_fmac_f32_e32 v75, 0xbee1c552, v6
	s_delay_alu instid0(VALU_DEP_4)
	v_fma_f32 v76, 0xbf5ff5aa, v46, -v50
	v_fmamk_f32 v46, v53, 0xbf955555, v31
	v_fmamk_f32 v50, v48, 0xbeae86e6, v50
	v_fma_f32 v54, 0x3eae86e6, v48, -v54
	v_add_f32_e32 v48, v83, v52
	v_fmac_f32_e32 v76, 0xbee1c552, v24
	v_add_f32_e32 v52, v55, v46
	v_add_f32_e32 v55, v47, v46
	v_dual_fmac_f32 v51, 0xbee1c552, v6 :: v_dual_fmac_f32 v54, 0xbee1c552, v24
	v_fmac_f32_e32 v50, 0xbee1c552, v24
	v_sub_f32_e32 v45, v48, v76
	v_add_f32_e32 v47, v76, v48
	v_sub_f32_e32 v48, v52, v26
	v_dual_add_f32 v49, v49, v46 :: v_dual_add_f32 v46, v26, v52
	v_add_f32_e32 v6, v80, v17
	v_dual_add_f32 v24, v25, v16 :: v_dual_sub_f32 v53, v55, v75
	v_add_f32_e32 v26, v32, v2
	v_add_f32_e32 v52, v54, v4
	v_dual_sub_f32 v54, v4, v54 :: v_dual_add_f32 v55, v75, v55
	s_delay_alu instid0(VALU_DEP_4) | instskip(NEXT) | instid1(VALU_DEP_4)
	v_add_f32_e32 v76, v24, v6
	v_add_f32_e32 v83, v85, v26
	v_sub_f32_e32 v2, v32, v2
	v_dual_sub_f32 v16, v25, v16 :: v_dual_sub_f32 v17, v80, v17
	s_delay_alu instid0(VALU_DEP_4) | instskip(NEXT) | instid1(VALU_DEP_4)
	v_add_f32_e32 v4, v86, v76
	v_dual_add_f32 v75, v50, v84 :: v_dual_add_f32 v88, v87, v83
	v_dual_sub_f32 v0, v7, v0 :: v_dual_sub_f32 v3, v24, v6
	v_sub_f32_e32 v6, v6, v86
	v_dual_sub_f32 v7, v86, v24 :: v_dual_sub_f32 v24, v85, v26
	s_delay_alu instid0(VALU_DEP_4) | instskip(SKIP_4) | instid1(VALU_DEP_4)
	v_add_f32_e32 v74, v74, v88
	v_dual_sub_f32 v25, v26, v87 :: v_dual_add_f32 v26, v5, v16
	v_sub_f32_e32 v32, v5, v16
	v_dual_sub_f32 v5, v17, v5 :: v_dual_mul_f32 v6, 0x3f4a47b2, v6
	v_sub_f32_e32 v16, v16, v17
	v_dual_add_f32 v17, v26, v17 :: v_dual_add_f32 v26, v1, v0
	v_dual_sub_f32 v76, v49, v51 :: v_dual_sub_f32 v83, v84, v50
	v_dual_add_f32 v84, v51, v49 :: v_dual_add_f32 v73, v73, v4
	v_sub_f32_e32 v49, v1, v0
	v_dual_sub_f32 v1, v2, v1 :: v_dual_sub_f32 v0, v0, v2
	v_dual_add_f32 v2, v26, v2 :: v_dual_mul_f32 v25, 0x3f4a47b2, v25
	v_dual_mul_f32 v50, 0x3d64c772, v7 :: v_dual_fmamk_f32 v7, v7, 0x3d64c772, v6
	s_delay_alu instid0(VALU_DEP_2) | instskip(NEXT) | instid1(VALU_DEP_2)
	v_dual_mul_f32 v26, 0x3d64c772, v27 :: v_dual_fmamk_f32 v27, v27, 0x3d64c772, v25
	v_fma_f32 v50, 0x3f3bfb3b, v3, -v50
	v_fma_f32 v3, 0xbf3bfb3b, v3, -v6
	s_delay_alu instid0(VALU_DEP_3) | instskip(SKIP_2) | instid1(VALU_DEP_1)
	v_fma_f32 v26, 0x3f3bfb3b, v24, -v26
	v_fma_f32 v24, 0xbf3bfb3b, v24, -v25
	v_mul_f32_e32 v25, 0xbf5ff5aa, v16
	v_fma_f32 v25, 0x3eae86e6, v5, -v25
	s_delay_alu instid0(VALU_DEP_1) | instskip(SKIP_2) | instid1(VALU_DEP_2)
	v_fmac_f32_e32 v25, 0xbee1c552, v17
	v_mul_f32_e32 v6, 0x3f08b237, v32
	v_mul_f32_e32 v32, 0x3f08b237, v49
	v_fma_f32 v16, 0xbf5ff5aa, v16, -v6
	v_fmamk_f32 v49, v5, 0xbeae86e6, v6
	v_lshrrev_b32_e32 v6, 2, v62
	s_delay_alu instid0(VALU_DEP_4)
	v_fma_f32 v51, 0xbf5ff5aa, v0, -v32
	v_mul_f32_e32 v5, 0xbf5ff5aa, v0
	v_fmamk_f32 v0, v4, 0xbf955555, v73
	v_fmac_f32_e32 v16, 0xbee1c552, v17
	v_mul_lo_u32 v4, v6, 28
	v_fmac_f32_e32 v51, 0xbee1c552, v2
	v_fmamk_f32 v6, v88, 0xbf955555, v74
	v_fma_f32 v80, 0x3eae86e6, v1, -v5
	s_delay_alu instid0(VALU_DEP_2)
	v_add_f32_e32 v27, v27, v6
	v_add_f32_e32 v85, v7, v0
	v_dual_add_f32 v5, v50, v0 :: v_dual_fmamk_f32 v32, v1, 0xbeae86e6, v32
	v_add_f32_e32 v7, v3, v0
	v_or_b32_e32 v0, v4, v79
	v_add_f32_e32 v26, v26, v6
	s_delay_alu instid0(VALU_DEP_4)
	v_add_f32_e32 v4, v51, v5
	v_fmac_f32_e32 v32, 0xbee1c552, v2
	v_fmac_f32_e32 v80, 0xbee1c552, v2
	v_lshl_add_u32 v86, v0, 3, 0
	v_dual_sub_f32 v2, v5, v51 :: v_dual_add_f32 v3, v16, v26
	v_dual_sub_f32 v5, v26, v16 :: v_dual_add_f32 v24, v24, v6
	v_lshrrev_b32_e32 v6, 2, v70
	v_lshrrev_b32_e32 v16, 2, v69
	ds_store_2addr_b64 v86, v[10:11], v[41:42] offset1:4
	v_fmac_f32_e32 v49, 0xbee1c552, v17
	v_lshrrev_b32_e32 v17, 2, v68
	v_mul_lo_u32 v11, v6, 28
	v_sub_f32_e32 v6, v7, v80
	v_mul_lo_u32 v16, v16, 28
	v_add_f32_e32 v0, v80, v7
	v_sub_f32_e32 v1, v24, v25
	v_add_f32_e32 v7, v25, v24
	v_mul_lo_u32 v17, v17, 28
	ds_store_2addr_b64 v86, v[37:38], v[33:34] offset0:8 offset1:12
	v_or_b32_e32 v24, v11, v79
	v_add_f32_e32 v10, v32, v85
	v_or_b32_e32 v16, v16, v79
	v_dual_sub_f32 v11, v27, v49 :: v_dual_sub_f32 v50, v85, v32
	s_delay_alu instid0(VALU_DEP_4)
	v_lshl_add_u32 v24, v24, 3, 0
	ds_store_2addr_b64 v86, v[35:36], v[39:40] offset0:16 offset1:20
	ds_store_b64 v86, v[43:44] offset:192
	ds_store_2addr_b64 v24, v[12:13], v[22:23] offset1:4
	v_or_b32_e32 v12, v17, v79
	v_lshl_add_u32 v13, v16, 3, 0
	ds_store_2addr_b64 v24, v[18:19], v[8:9] offset0:8 offset1:12
	ds_store_2addr_b64 v24, v[14:15], v[20:21] offset0:16 offset1:20
	ds_store_b64 v24, v[28:29] offset:192
	v_add_f32_e32 v51, v49, v27
	v_lshl_add_u32 v8, v12, 3, 0
	ds_store_2addr_b64 v13, v[30:31], v[75:76] offset1:4
	ds_store_2addr_b64 v13, v[52:53], v[45:46] offset0:8 offset1:12
	ds_store_2addr_b64 v13, v[47:48], v[54:55] offset0:16 offset1:20
	ds_store_b64 v13, v[83:84] offset:192
	ds_store_2addr_b64 v8, v[73:74], v[10:11] offset1:4
	ds_store_2addr_b64 v8, v[0:1], v[2:3] offset0:8 offset1:12
	ds_store_2addr_b64 v8, v[4:5], v[6:7] offset0:16 offset1:20
	ds_store_b64 v8, v[50:51] offset:192
	v_add_nc_u32_e32 v0, 0xc00, v89
	global_wb scope:SCOPE_SE
	s_wait_dscnt 0x0
	s_barrier_signal -1
	s_barrier_wait -1
	global_inv scope:SCOPE_SE
	ds_load_b64 v[54:55], v89
	ds_load_b64 v[75:76], v93
	ds_load_b32 v100, v89 offset:7844
	ds_load_b64 v[87:88], v89 offset:7840
	ds_load_2addr_b64 v[44:47], v77 offset0:12 offset1:68
	ds_load_2addr_b64 v[40:43], v77 offset0:124 offset1:180
	;; [unrolled: 1-line block ×3, first 2 shown]
	s_wait_dscnt 0x3
	v_lshl_add_u32 v88, v64, 3, 0
	v_add_nc_u32_e32 v1, 0x1400, v89
	ds_load_b64 v[85:86], v92
	ds_load_b64 v[77:78], v91
	;; [unrolled: 1-line block ×5, first 2 shown]
	ds_load_2addr_b64 v[32:35], v81 offset0:92 offset1:148
	ds_load_b64 v[83:84], v82
	ds_load_b64 v[81:82], v88
	ds_load_2addr_b64 v[8:11], v0 offset0:120 offset1:176
	ds_load_2addr_b64 v[36:39], v96 offset0:76 offset1:132
	;; [unrolled: 1-line block ×8, first 2 shown]
	s_and_saveexec_b32 s1, s0
	s_cbranch_execz .LBB0_17
; %bb.16:
	ds_load_b64 v[50:51], v89 offset:7616
	ds_load_b64 v[71:72], v89 offset:15456
.LBB0_17:
	s_wait_alu 0xfffe
	s_or_b32 exec_lo, exec_lo, s1
	v_lshrrev_b16 v48, 2, v62
	v_lshrrev_b16 v49, 2, v70
	;; [unrolled: 1-line block ×5, first 2 shown]
	v_and_b32_e32 v48, 63, v48
	v_and_b32_e32 v49, 63, v49
	v_lshrrev_b16 v105, 2, v64
	v_add_nc_u16 v111, v56, 0x1f8
	v_add_nc_u16 v114, v56, 0x230
	v_mul_lo_u16 v48, v48, 37
	v_mul_lo_u16 v49, v49, 37
	v_and_b32_e32 v105, 0xffff, v105
	v_lshrrev_b16 v106, 2, v111
	v_lshrrev_b16 v108, 2, v114
	;; [unrolled: 1-line block ×3, first 2 shown]
	v_and_b32_e32 v48, 63, v63
	v_lshrrev_b16 v63, 8, v49
	v_and_b32_e32 v49, 0xffff, v96
	v_mul_u32_u24_e32 v105, 0x4925, v105
	v_mul_lo_u16 v96, v98, 28
	v_mul_lo_u16 v48, v48, 37
	;; [unrolled: 1-line block ×3, first 2 shown]
	v_mul_u32_u24_e32 v49, 0x4925, v49
	v_lshrrev_b32_e32 v105, 17, v105
	v_sub_nc_u16 v99, v62, v96
	v_lshrrev_b16 v96, 8, v48
	v_sub_nc_u16 v48, v70, v97
	v_lshrrev_b32_e32 v97, 17, v49
	v_mul_lo_u16 v113, v105, 28
	v_and_b32_e32 v49, 0xff, v99
	v_mul_lo_u16 v101, v96, 28
	v_and_b32_e32 v48, 0xff, v48
	v_mul_lo_u16 v102, v97, 28
	v_add_nc_u16 v138, v56, 0x268
	v_lshlrev_b32_e32 v99, 3, v49
	v_sub_nc_u16 v49, v69, v101
	v_lshlrev_b32_e32 v101, 3, v48
	v_sub_nc_u16 v48, v68, v102
	v_add_nc_u16 v139, v56, 0x2a0
	global_load_b64 v[116:117], v99, s[8:9] offset:192
	v_and_b32_e32 v49, 0xff, v49
	global_load_b64 v[118:119], v101, s[8:9] offset:192
	v_and_b32_e32 v48, 0xffff, v48
	v_add_nc_u16 v140, v56, 0x2d8
	v_add_nc_u16 v141, v56, 0x310
	v_lshlrev_b32_e32 v102, 3, v49
	v_lshrrev_b16 v49, 2, v66
	v_lshlrev_b32_e32 v103, 3, v48
	v_lshrrev_b16 v48, 2, v67
	s_clause 0x1
	global_load_b64 v[120:121], v102, s[8:9] offset:192
	global_load_b64 v[122:123], v103, s[8:9] offset:192
	v_and_b32_e32 v49, 0xffff, v49
	v_and_b32_e32 v48, 0xffff, v48
	v_add_nc_u16 v143, v56, 0x348
	s_delay_alu instid0(VALU_DEP_3) | instskip(NEXT) | instid1(VALU_DEP_1)
	v_mul_u32_u24_e32 v49, 0x4925, v49
	v_lshrrev_b32_e32 v109, 17, v49
	s_wait_loadcnt_dscnt 0x312
	v_mul_f32_e32 v142, v117, v45
	s_wait_loadcnt 0x2
	v_dual_mul_f32 v117, v117, v44 :: v_dual_mul_f32 v144, v119, v47
	s_delay_alu instid0(VALU_DEP_2) | instskip(NEXT) | instid1(VALU_DEP_2)
	v_dual_mul_f32 v119, v119, v46 :: v_dual_fmac_f32 v142, v116, v44
	v_fma_f32 v116, v116, v45, -v117
	s_delay_alu instid0(VALU_DEP_3) | instskip(NEXT) | instid1(VALU_DEP_3)
	v_fmac_f32_e32 v144, v118, v46
	v_fma_f32 v117, v118, v47, -v119
	v_lshrrev_b16 v45, 2, v138
	v_or_b32_e32 v44, 0x380, v56
	s_wait_loadcnt_dscnt 0x111
	v_mul_f32_e32 v118, v121, v41
	v_mul_f32_e32 v47, v121, v40
	s_wait_loadcnt 0x0
	v_mul_f32_e32 v121, v123, v43
	v_dual_mul_f32 v123, v123, v42 :: v_dual_and_b32 v104, 0xffff, v104
	v_mul_u32_u24_e32 v48, 0x4925, v48
	v_lshrrev_b16 v46, 2, v139
	s_delay_alu instid0(VALU_DEP_4)
	v_fmac_f32_e32 v121, v122, v42
	v_lshrrev_b16 v119, 2, v140
	v_mul_u32_u24_e32 v104, 0x4925, v104
	v_lshrrev_b32_e32 v107, 17, v48
	v_and_b32_e32 v48, 0xffff, v106
	v_and_b32_e32 v106, 0xffff, v108
	v_mul_lo_u16 v108, v109, 28
	v_lshrrev_b32_e32 v104, 17, v104
	v_mul_lo_u16 v49, v107, 28
	v_mul_u32_u24_e32 v48, 0x4925, v48
	v_mul_u32_u24_e32 v110, 0x4925, v106
	v_sub_nc_u16 v115, v66, v108
	v_mul_lo_u16 v112, v104, 28
	v_sub_nc_u16 v49, v67, v49
	v_lshrrev_b32_e32 v106, 17, v48
	v_lshrrev_b32_e32 v108, 17, v110
	v_and_b32_e32 v110, 0xffff, v115
	v_sub_nc_u16 v115, v64, v113
	v_and_b32_e32 v48, 0xffff, v49
	v_sub_nc_u16 v49, v65, v112
	v_mul_lo_u16 v128, v108, 28
	v_lshlrev_b32_e32 v113, 3, v110
	v_and_b32_e32 v115, 0xffff, v115
	v_lshlrev_b32_e32 v112, 3, v48
	v_mul_lo_u16 v48, v106, 28
	v_and_b32_e32 v49, 0xffff, v49
	global_load_b64 v[126:127], v113, s[8:9] offset:192
	v_fmac_f32_e32 v118, v120, v40
	global_load_b64 v[124:125], v112, s[8:9] offset:192
	v_sub_nc_u16 v48, v111, v48
	v_lshlrev_b32_e32 v110, 3, v49
	v_lshlrev_b32_e32 v111, 3, v115
	v_sub_nc_u16 v49, v114, v128
	v_lshrrev_b16 v40, 2, v141
	v_fma_f32 v122, v122, v43, -v123
	s_clause 0x1
	global_load_b64 v[128:129], v110, s[8:9] offset:192
	global_load_b64 v[130:131], v111, s[8:9] offset:192
	v_and_b32_e32 v43, 0xffff, v45
	v_fma_f32 v120, v120, v41, -v47
	v_lshrrev_b16 v41, 2, v143
	v_lshrrev_b16 v42, 2, v44
	v_and_b32_e32 v45, 0xffff, v46
	v_and_b32_e32 v46, 0xffff, v119
	;; [unrolled: 1-line block ×3, first 2 shown]
	v_mul_u32_u24_e32 v43, 0x4925, v43
	v_and_b32_e32 v41, 0xffff, v41
	v_and_b32_e32 v42, 0xffff, v42
	v_mul_u32_u24_e32 v46, 0x4925, v46
	v_mul_u32_u24_e32 v40, 0x4925, v40
	v_lshrrev_b32_e32 v119, 17, v43
	v_mul_u32_u24_e32 v41, 0x4925, v41
	v_mul_u32_u24_e32 v42, 0x4925, v42
	v_lshrrev_b32_e32 v145, 17, v46
	v_lshrrev_b32_e32 v146, 17, v40
	v_mul_lo_u16 v40, v119, 28
	v_mul_u32_u24_e32 v45, 0x4925, v45
	v_lshrrev_b32_e32 v147, 17, v41
	v_lshrrev_b32_e32 v148, 17, v42
	v_mul_lo_u16 v42, v145, 28
	v_sub_nc_u16 v40, v138, v40
	v_lshrrev_b32_e32 v123, 17, v45
	v_mul_lo_u16 v45, v147, 28
	v_and_b32_e32 v48, 0xffff, v48
	v_sub_nc_u16 v42, v140, v42
	v_and_b32_e32 v40, 0xffff, v40
	v_and_b32_e32 v49, 0xffff, v49
	v_sub_nc_u16 v45, v143, v45
	v_mul_lo_u16 v41, v123, 28
	v_and_b32_e32 v42, 0xffff, v42
	v_lshlrev_b32_e32 v138, 3, v40
	v_lshlrev_b32_e32 v115, 3, v49
	v_mul_lo_u16 v43, v146, 28
	v_sub_nc_u16 v41, v139, v41
	v_dual_mov_b32 v49, 0 :: v_dual_lshlrev_b32 v140, 3, v42
	v_mul_lo_u16 v46, v148, 28
	s_delay_alu instid0(VALU_DEP_4) | instskip(NEXT) | instid1(VALU_DEP_4)
	v_sub_nc_u16 v43, v141, v43
	v_and_b32_e32 v41, 0xffff, v41
	v_and_b32_e32 v45, 0xffff, v45
	s_delay_alu instid0(VALU_DEP_4) | instskip(NEXT) | instid1(VALU_DEP_4)
	v_sub_nc_u16 v44, v44, v46
	v_and_b32_e32 v43, 0xffff, v43
	s_delay_alu instid0(VALU_DEP_1) | instskip(SKIP_4) | instid1(VALU_DEP_2)
	v_lshlrev_b32_e32 v141, 3, v43
	s_wait_loadcnt_dscnt 0x310
	v_mul_f32_e32 v149, v127, v31
	s_wait_loadcnt 0x2
	v_dual_mul_f32 v42, v127, v30 :: v_dual_mul_f32 v143, v125, v29
	v_dual_mul_f32 v40, v125, v28 :: v_dual_fmac_f32 v149, v126, v30
	s_delay_alu instid0(VALU_DEP_2) | instskip(NEXT) | instid1(VALU_DEP_3)
	v_fma_f32 v126, v126, v31, -v42
	v_fmac_f32_e32 v143, v124, v28
	s_delay_alu instid0(VALU_DEP_3)
	v_fma_f32 v124, v124, v29, -v40
	s_wait_loadcnt_dscnt 0x10a
	v_mul_f32_e32 v127, v33, v129
	s_wait_loadcnt 0x0
	v_dual_mul_f32 v28, v32, v129 :: v_dual_mul_f32 v129, v35, v131
	v_dual_mul_f32 v29, v34, v131 :: v_dual_lshlrev_b32 v114, 3, v48
	v_lshlrev_b32_e32 v139, 3, v41
	v_subrev_nc_u32_e32 v48, 28, v56
	s_delay_alu instid0(VALU_DEP_4)
	v_fmac_f32_e32 v129, v34, v130
	s_clause 0x3
	global_load_b64 v[132:133], v114, s[8:9] offset:192
	global_load_b64 v[134:135], v115, s[8:9] offset:192
	;; [unrolled: 1-line block ×4, first 2 shown]
	v_cndmask_b32_e64 v48, v48, v56, s0
	v_fmac_f32_e32 v127, v32, v128
	v_fma_f32 v128, v33, v128, -v28
	v_fma_f32 v130, v35, v130, -v29
	v_lshlrev_b32_e32 v125, 3, v45
	v_lshlrev_b64_e32 v[136:137], 3, v[48:49]
	v_and_b32_e32 v31, 0xffff, v63
	v_mul_u32_u24_e32 v34, 0x1c0, v97
	v_mul_u32_u24_e32 v97, 0x1c0, v146
	s_delay_alu instid0(VALU_DEP_4)
	v_add_co_u32 v136, s1, s8, v136
	s_wait_alu 0xf1ff
	v_add_co_ci_u32_e64 v137, s1, s9, v137, s1
	v_cmp_lt_u32_e64 s1, 27, v56
	global_load_b64 v[136:137], v[136:137], off offset:192
	s_wait_loadcnt_dscnt 0x406
	v_mul_f32_e32 v131, v37, v133
	s_wait_loadcnt 0x3
	v_dual_mul_f32 v28, v36, v133 :: v_dual_mul_f32 v133, v39, v135
	v_dual_mul_f32 v29, v38, v135 :: v_dual_and_b32 v44, 0xffff, v44
	s_delay_alu instid0(VALU_DEP_3) | instskip(NEXT) | instid1(VALU_DEP_3)
	v_fmac_f32_e32 v131, v36, v132
	v_fma_f32 v132, v37, v132, -v28
	s_delay_alu instid0(VALU_DEP_3)
	v_dual_fmac_f32 v133, v38, v134 :: v_dual_lshlrev_b32 v150, 3, v44
	global_load_b64 v[44:45], v140, s[8:9] offset:192
	v_fma_f32 v134, v39, v134, -v29
	s_wait_alu 0xf1ff
	v_cndmask_b32_e64 v28, 0, 0x1c0, s1
	v_lshlrev_b32_e32 v29, 3, v48
	v_and_b32_e32 v30, 0xffff, v98
	v_mul_u32_u24_e32 v39, 0x1c0, v109
	s_clause 0x1
	global_load_b64 v[35:36], v141, s[8:9] offset:192
	global_load_b64 v[46:47], v125, s[8:9] offset:192
	v_add3_u32 v109, 0, v34, v103
	v_add3_u32 v63, 0, v28, v29
	v_and_b32_e32 v28, 0xffff, v96
	v_mul_u32_u24_e32 v29, 0x1c0, v30
	v_add3_u32 v113, 0, v39, v113
	v_mul_u32_u24_e32 v39, 0x1c0, v106
	v_mul_u32_u24_e32 v96, 0x1c0, v119
	v_mul_u32_u24_e32 v28, 0x1c0, v28
	v_add3_u32 v135, 0, v29, v99
	v_mul_u32_u24_e32 v29, 0x1c0, v107
	v_mul_u32_u24_e32 v30, 0x1c0, v31
	;; [unrolled: 4-line block ×3, first 2 shown]
	v_add3_u32 v151, 0, v30, v101
	v_mul_u32_u24_e32 v98, 0x1c0, v147
	v_mul_u32_u24_e32 v99, 0x1c0, v148
	v_add3_u32 v106, 0, v28, v110
	v_add3_u32 v110, 0, v39, v114
	v_mul_u32_u24_e32 v39, 0x1c0, v123
	v_add3_u32 v123, 0, v97, v141
	s_wait_loadcnt_dscnt 0x404
	v_mul_f32_e32 v97, v27, v43
	global_load_b64 v[37:38], v150, s[8:9] offset:192
	v_add3_u32 v114, 0, v96, v138
	v_mul_u32_u24_e32 v96, 0x1c0, v145
	v_dual_fmac_f32 v97, v26, v42 :: v_dual_lshlrev_b32 v30, 2, v69
	v_dual_mul_f32 v43, v26, v43 :: v_dual_lshlrev_b32 v32, 2, v62
	s_delay_alu instid0(VALU_DEP_3)
	v_add3_u32 v119, 0, v96, v140
	v_mul_f32_e32 v96, v25, v41
	v_add3_u32 v108, 0, v34, v111
	v_lshlrev_b32_e32 v28, 2, v67
	v_add3_u32 v138, 0, v99, v150
	v_fma_f32 v101, v27, v42, -v43
	v_fmac_f32_e32 v96, v24, v40
	v_lshlrev_b32_e32 v33, 2, v56
	v_lshlrev_b32_e32 v31, 2, v70
	v_add3_u32 v112, 0, v29, v112
	v_lshlrev_b32_e32 v29, 2, v68
	v_mul_i32_i24_e32 v34, 0xffffffe8, v67
	global_wb scope:SCOPE_SE
	s_wait_loadcnt_dscnt 0x0
	s_barrier_signal -1
	s_barrier_wait -1
	global_inv scope:SCOPE_SE
	v_dual_mul_f32 v99, v17, v45 :: v_dual_mul_f32 v26, v18, v36
	v_add3_u32 v111, 0, v48, v115
	v_mul_f32_e32 v102, v19, v36
	v_dual_mul_f32 v103, v21, v47 :: v_dual_lshlrev_b32 v48, 2, v66
	s_delay_alu instid0(VALU_DEP_4)
	v_fma_f32 v104, v19, v35, -v26
	v_sub_f32_e32 v26, v83, v143
	v_add3_u32 v115, 0, v39, v139
	v_mul_f32_e32 v39, v24, v41
	v_dual_mul_f32 v41, v100, v137 :: v_dual_mul_f32 v24, v137, v87
	v_dual_fmac_f32 v102, v18, v35 :: v_dual_fmac_f32 v103, v20, v46
	s_delay_alu instid0(VALU_DEP_2) | instskip(NEXT) | instid1(VALU_DEP_3)
	v_dual_sub_f32 v18, v75, v142 :: v_dual_fmac_f32 v41, v136, v87
	v_fma_f32 v24, v100, v136, -v24
	s_delay_alu instid0(VALU_DEP_3) | instskip(SKIP_1) | instid1(VALU_DEP_4)
	v_dual_sub_f32 v100, v2, v102 :: v_dual_sub_f32 v19, v76, v116
	v_sub_f32_e32 v35, v52, v149
	v_fma_f32 v43, v75, 2.0, -v18
	v_dual_sub_f32 v75, v10, v133 :: v_dual_sub_f32 v102, v12, v103
	v_fma_f32 v83, v83, 2.0, -v26
	s_delay_alu instid0(VALU_DEP_4) | instskip(SKIP_4) | instid1(VALU_DEP_3)
	v_fma_f32 v52, v52, 2.0, -v35
	v_fma_f32 v2, v2, 2.0, -v100
	v_mul_f32_e32 v36, v22, v38
	v_fma_f32 v10, v10, 2.0, -v75
	v_fma_f32 v12, v12, 2.0, -v102
	v_fma_f32 v136, v23, v37, -v36
	v_sub_f32_e32 v36, v53, v126
	v_add3_u32 v125, 0, v98, v125
	v_fma_f32 v98, v25, v40, -v39
	v_mul_f32_e32 v25, v16, v45
	v_mul_f32_e32 v27, v20, v47
	v_dual_mul_f32 v47, v23, v38 :: v_dual_sub_f32 v20, v85, v144
	v_sub_f32_e32 v23, v78, v120
	s_delay_alu instid0(VALU_DEP_4) | instskip(NEXT) | instid1(VALU_DEP_4)
	v_fma_f32 v87, v17, v44, -v25
	v_fma_f32 v105, v21, v46, -v27
	s_delay_alu instid0(VALU_DEP_4)
	v_fmac_f32_e32 v47, v22, v37
	v_dual_fmac_f32 v99, v16, v44 :: v_dual_sub_f32 v16, v54, v41
	v_sub_f32_e32 v17, v55, v24
	v_dual_sub_f32 v21, v86, v117 :: v_dual_sub_f32 v22, v77, v118
	v_dual_sub_f32 v24, v73, v121 :: v_dual_sub_f32 v25, v74, v122
	v_sub_f32_e32 v27, v84, v124
	v_dual_sub_f32 v37, v79, v127 :: v_dual_sub_f32 v38, v80, v128
	v_dual_sub_f32 v39, v81, v129 :: v_dual_sub_f32 v40, v82, v130
	v_fma_f32 v41, v54, 2.0, -v16
	v_fma_f32 v42, v55, 2.0, -v17
	;; [unrolled: 1-line block ×5, first 2 shown]
	v_dual_sub_f32 v54, v8, v131 :: v_dual_sub_f32 v55, v9, v132
	v_dual_sub_f32 v76, v11, v134 :: v_dual_sub_f32 v85, v4, v96
	v_sub_f32_e32 v86, v5, v98
	v_sub_f32_e32 v96, v6, v97
	;; [unrolled: 1-line block ×4, first 2 shown]
	v_dual_sub_f32 v103, v13, v105 :: v_dual_sub_f32 v104, v14, v47
	v_sub_f32_e32 v98, v0, v99
	v_sub_f32_e32 v99, v1, v87
	;; [unrolled: 1-line block ×3, first 2 shown]
	v_fma_f32 v77, v77, 2.0, -v22
	v_fma_f32 v78, v78, 2.0, -v23
	;; [unrolled: 1-line block ×10, first 2 shown]
	ds_store_2addr_b64 v63, v[41:42], v[16:17] offset1:28
	ds_store_2addr_b64 v135, v[43:44], v[18:19] offset1:28
	;; [unrolled: 1-line block ×3, first 2 shown]
	v_fma_f32 v8, v8, 2.0, -v54
	v_fma_f32 v9, v9, 2.0, -v55
	;; [unrolled: 1-line block ×13, first 2 shown]
	ds_store_2addr_b64 v107, v[77:78], v[22:23] offset1:28
	ds_store_2addr_b64 v109, v[73:74], v[24:25] offset1:28
	;; [unrolled: 1-line block ×14, first 2 shown]
	s_and_saveexec_b32 s1, s0
	s_cbranch_execz .LBB0_19
; %bb.18:
	v_add_nc_u16 v0, v56, 0x3b8
	s_delay_alu instid0(VALU_DEP_1) | instskip(NEXT) | instid1(VALU_DEP_1)
	v_lshrrev_b16 v1, 2, v0
	v_and_b32_e32 v1, 0xffff, v1
	s_delay_alu instid0(VALU_DEP_1) | instskip(NEXT) | instid1(VALU_DEP_1)
	v_mul_u32_u24_e32 v1, 0x4925, v1
	v_lshrrev_b32_e32 v1, 17, v1
	s_delay_alu instid0(VALU_DEP_1) | instskip(NEXT) | instid1(VALU_DEP_1)
	v_mul_lo_u16 v1, v1, 28
	v_sub_nc_u16 v0, v0, v1
	s_delay_alu instid0(VALU_DEP_1) | instskip(NEXT) | instid1(VALU_DEP_1)
	v_and_b32_e32 v0, 0xffff, v0
	v_lshlrev_b32_e32 v2, 3, v0
	global_load_b64 v[0:1], v2, s[8:9] offset:192
	s_wait_loadcnt 0x0
	v_mul_f32_e32 v3, v71, v1
	v_mul_f32_e32 v4, v72, v1
	s_delay_alu instid0(VALU_DEP_2) | instskip(NEXT) | instid1(VALU_DEP_2)
	v_fma_f32 v1, v72, v0, -v3
	v_fmac_f32_e32 v4, v71, v0
	s_delay_alu instid0(VALU_DEP_1) | instskip(SKIP_1) | instid1(VALU_DEP_2)
	v_dual_sub_f32 v1, v51, v1 :: v_dual_sub_f32 v0, v50, v4
	v_add_nc_u32_e32 v4, 0, v2
	v_fma_f32 v3, v51, 2.0, -v1
	s_delay_alu instid0(VALU_DEP_3) | instskip(NEXT) | instid1(VALU_DEP_3)
	v_fma_f32 v2, v50, 2.0, -v0
	v_add_nc_u32_e32 v4, 0x3800, v4
	ds_store_2addr_b64 v4, v[2:3], v[0:1] offset0:112 offset1:140
.LBB0_19:
	s_wait_alu 0xfffe
	s_or_b32 exec_lo, exec_lo, s1
	v_mul_u32_u24_e32 v0, 6, v56
	v_lshrrev_b16 v1, 3, v70
	v_lshrrev_b16 v2, 3, v69
	global_wb scope:SCOPE_SE
	s_wait_dscnt 0x0
	s_barrier_signal -1
	v_lshlrev_b32_e32 v0, 3, v0
	s_barrier_wait -1
	global_inv scope:SCOPE_SE
	v_lshrrev_b16 v3, 3, v68
	v_add_nc_u32_e32 v25, 0x1c00, v89
	s_clause 0x1
	global_load_b128 v[51:54], v0, s[8:9] offset:416
	global_load_b128 v[71:74], v0, s[8:9] offset:432
	v_and_b32_e32 v1, 31, v1
	v_and_b32_e32 v2, 31, v2
	;; [unrolled: 1-line block ×3, first 2 shown]
	v_add_nc_u32_e32 v38, v57, v34
	v_add_nc_u32_e32 v42, 0x1000, v89
	v_mul_lo_u16 v1, v1, 37
	v_mul_lo_u16 v2, v2, 37
	v_mul_u32_u24_e32 v3, 0x2493, v3
	v_add_nc_u32_e32 v50, 0x800, v89
	v_add_nc_u32_e32 v24, 0x2400, v89
	v_lshrrev_b16 v1, 8, v1
	v_lshrrev_b16 v2, 8, v2
	v_lshrrev_b32_e32 v3, 16, v3
	v_add_nc_u32_e32 v43, 0x1800, v89
	v_add_nc_u32_e32 v40, 0x2000, v89
	v_mul_lo_u16 v1, v1, 56
	v_mul_lo_u16 v2, v2, 56
	;; [unrolled: 1-line block ×3, first 2 shown]
	v_add_nc_u32_e32 v41, 0x2800, v89
	v_add_nc_u32_e32 v39, 0x3800, v89
	v_sub_nc_u16 v1, v70, v1
	v_sub_nc_u16 v2, v69, v2
	s_mov_b32 s4, exec_lo
	s_delay_alu instid0(VALU_DEP_2) | instskip(SKIP_1) | instid1(VALU_DEP_3)
	v_and_b32_e32 v47, 0xff, v1
	v_sub_nc_u16 v1, v68, v3
	v_and_b32_e32 v46, 0xff, v2
	s_delay_alu instid0(VALU_DEP_3) | instskip(NEXT) | instid1(VALU_DEP_3)
	v_mul_u32_u24_e32 v2, 6, v47
	v_and_b32_e32 v45, 0xffff, v1
	s_delay_alu instid0(VALU_DEP_3) | instskip(NEXT) | instid1(VALU_DEP_3)
	v_mul_u32_u24_e32 v1, 6, v46
	v_lshlrev_b32_e32 v2, 3, v2
	s_delay_alu instid0(VALU_DEP_3) | instskip(NEXT) | instid1(VALU_DEP_3)
	v_mul_u32_u24_e32 v3, 6, v45
	v_lshlrev_b32_e32 v1, 3, v1
	s_clause 0x1
	global_load_b128 v[75:78], v2, s[8:9] offset:416
	global_load_b128 v[79:82], v1, s[8:9] offset:416
	v_lshlrev_b32_e32 v3, 3, v3
	s_clause 0x7
	global_load_b128 v[83:86], v3, s[8:9] offset:416
	global_load_b128 v[96:99], v0, s[8:9] offset:448
	global_load_b128 v[20:23], v2, s[8:9] offset:432
	global_load_b128 v[16:19], v2, s[8:9] offset:448
	global_load_b128 v[12:15], v1, s[8:9] offset:432
	global_load_b128 v[8:11], v1, s[8:9] offset:448
	global_load_b128 v[4:7], v3, s[8:9] offset:432
	global_load_b128 v[0:3], v3, s[8:9] offset:448
	ds_load_b64 v[34:35], v89
	ds_load_b64 v[152:153], v38
	s_wait_loadcnt_dscnt 0xb00
	v_mul_f32_e32 v55, v52, v153
	v_dual_mul_f32 v57, v52, v152 :: v_dual_add_nc_u32 v44, 0x3000, v89
	s_delay_alu instid0(VALU_DEP_2)
	v_fmac_f32_e32 v55, v51, v152
	ds_load_2addr_b64 v[100:103], v42 offset0:48 offset1:104
	ds_load_b64 v[26:27], v92
	ds_load_b64 v[36:37], v93
	ds_load_b64 v[154:155], v89 offset:15232
	ds_load_2addr_b64 v[104:107], v50 offset0:80 offset1:136
	ds_load_2addr_b64 v[108:111], v43 offset0:16 offset1:72
	;; [unrolled: 1-line block ×10, first 2 shown]
	ds_load_2addr_b64 v[144:147], v39 offset1:56
	ds_load_2addr_b64 v[148:151], v25 offset0:112 offset1:168
	ds_load_b64 v[24:25], v90
	ds_load_b64 v[156:157], v91
	v_fma_f32 v57, v51, v153, -v57
	s_wait_dscnt 0x11
	v_mul_f32_e32 v63, v54, v101
	v_dual_mul_f32 v87, v54, v100 :: v_dual_mul_f32 v158, v103, v54
	s_wait_dscnt 0xd
	v_dual_mul_f32 v54, v102, v54 :: v_dual_mul_f32 v159, v105, v52
	s_delay_alu instid0(VALU_DEP_3) | instskip(NEXT) | instid1(VALU_DEP_3)
	v_fmac_f32_e32 v63, v53, v100
	v_fma_f32 v87, v53, v101, -v87
	v_mul_f32_e32 v52, v104, v52
	s_delay_alu instid0(VALU_DEP_4) | instskip(SKIP_4) | instid1(VALU_DEP_2)
	v_fma_f32 v100, v103, v53, -v54
	s_wait_loadcnt_dscnt 0xa0b
	v_dual_mul_f32 v101, v111, v72 :: v_dual_mul_f32 v54, v112, v74
	v_dual_mul_f32 v103, v115, v74 :: v_dual_fmac_f32 v158, v102, v53
	v_dual_mul_f32 v53, v110, v72 :: v_dual_mul_f32 v102, v113, v74
	v_fmac_f32_e32 v103, v114, v73
	s_delay_alu instid0(VALU_DEP_4)
	v_fmac_f32_e32 v101, v110, v71
	v_fma_f32 v110, v113, v73, -v54
	v_fmac_f32_e32 v159, v104, v51
	v_fma_f32 v104, v105, v51, -v52
	v_dual_mul_f32 v51, v114, v74 :: v_dual_fmac_f32 v102, v112, v73
	s_wait_dscnt 0x6
	v_mul_f32_e32 v74, v133, v72
	v_mul_f32_e32 v72, v132, v72
	v_fma_f32 v105, v111, v71, -v53
	v_fma_f32 v73, v115, v73, -v51
	ds_load_2addr_b64 v[51:54], v44 offset0:32 offset1:88
	v_fmac_f32_e32 v74, v132, v71
	v_fma_f32 v71, v133, v71, -v72
	v_add_f32_e32 v72, v101, v102
	v_add_f32_e32 v111, v105, v110
	v_sub_f32_e32 v101, v102, v101
	v_sub_f32_e32 v102, v110, v105
	s_wait_loadcnt 0x9
	v_mul_f32_e32 v110, v121, v78
	v_dual_mul_f32 v78, v120, v78 :: v_dual_add_f32 v105, v74, v103
	s_wait_loadcnt 0x8
	v_mul_f32_e32 v112, v123, v82
	v_sub_f32_e32 v74, v103, v74
	v_add_f32_e32 v103, v71, v73
	v_sub_f32_e32 v71, v73, v71
	v_dual_mul_f32 v73, v107, v76 :: v_dual_fmac_f32 v110, v120, v77
	v_mul_f32_e32 v76, v106, v76
	v_fma_f32 v77, v121, v77, -v78
	s_wait_loadcnt 0x6
	v_dual_mul_f32 v78, v126, v84 :: v_dual_mul_f32 v113, v129, v99
	v_fmac_f32_e32 v73, v106, v75
	v_fma_f32 v75, v107, v75, -v76
	v_mul_f32_e32 v76, v122, v82
	v_mul_f32_e32 v82, v125, v80
	;; [unrolled: 1-line block ×3, first 2 shown]
	v_dual_mul_f32 v106, v127, v84 :: v_dual_mul_f32 v107, v109, v86
	s_wait_dscnt 0x6
	v_dual_mul_f32 v84, v108, v86 :: v_dual_mul_f32 v115, v137, v97
	v_mul_f32_e32 v86, v119, v97
	v_fmac_f32_e32 v112, v122, v81
	v_fma_f32 v81, v123, v81, -v76
	v_mul_f32_e32 v76, v118, v97
	v_mul_f32_e32 v114, v128, v99
	v_fmac_f32_e32 v82, v124, v79
	v_fma_f32 v79, v125, v79, -v80
	v_dual_mul_f32 v80, v131, v99 :: v_dual_mul_f32 v97, v136, v97
	s_wait_loadcnt 0x5
	v_dual_mul_f32 v99, v130, v99 :: v_dual_mul_f32 v120, v135, v21
	v_dual_fmac_f32 v106, v126, v83 :: v_dual_fmac_f32 v107, v108, v85
	v_fma_f32 v121, v127, v83, -v78
	s_wait_dscnt 0x5
	v_dual_mul_f32 v21, v134, v21 :: v_dual_mul_f32 v78, v141, v23
	v_mul_f32_e32 v23, v140, v23
	s_wait_loadcnt 0x4
	v_mul_f32_e32 v83, v139, v17
	v_mul_f32_e32 v17, v138, v17
	v_fma_f32 v108, v109, v85, -v84
	s_wait_dscnt 0x4
	v_mul_f32_e32 v84, v145, v19
	v_mul_f32_e32 v19, v144, v19
	s_wait_loadcnt 0x3
	v_dual_mul_f32 v85, v143, v15 :: v_dual_fmac_f32 v80, v130, v98
	s_wait_loadcnt_dscnt 0x203
	v_dual_mul_f32 v109, v149, v13 :: v_dual_mul_f32 v122, v147, v11
	v_mul_f32_e32 v13, v148, v13
	v_dual_fmac_f32 v113, v128, v98 :: v_dual_fmac_f32 v86, v118, v96
	v_fma_f32 v114, v129, v98, -v114
	v_fma_f32 v98, v131, v98, -v99
	s_wait_loadcnt_dscnt 0x100
	v_dual_mul_f32 v99, v52, v9 :: v_dual_mul_f32 v118, v117, v7
	v_dual_mul_f32 v123, v151, v5 :: v_dual_fmac_f32 v84, v144, v18
	v_fma_f32 v76, v119, v96, -v76
	s_wait_loadcnt 0x0
	v_dual_fmac_f32 v115, v136, v96 :: v_dual_mul_f32 v124, v155, v3
	v_dual_mul_f32 v5, v150, v5 :: v_dual_fmac_f32 v118, v116, v6
	v_dual_mul_f32 v7, v116, v7 :: v_dual_fmac_f32 v122, v146, v10
	v_mul_f32_e32 v119, v54, v1
	s_delay_alu instid0(VALU_DEP_4)
	v_dual_mul_f32 v1, v53, v1 :: v_dual_fmac_f32 v124, v154, v2
	v_mul_f32_e32 v3, v154, v3
	v_mul_f32_e32 v15, v142, v15
	v_dual_mul_f32 v11, v146, v11 :: v_dual_fmac_f32 v78, v140, v22
	v_dual_mul_f32 v9, v51, v9 :: v_dual_fmac_f32 v120, v134, v20
	v_fma_f32 v96, v137, v96, -v97
	v_fma_f32 v20, v135, v20, -v21
	;; [unrolled: 1-line block ×3, first 2 shown]
	v_fmac_f32_e32 v83, v138, v16
	v_fmac_f32_e32 v123, v150, v4
	v_fma_f32 v128, v151, v4, -v5
	v_fma_f32 v116, v117, v6, -v7
	;; [unrolled: 1-line block ×3, first 2 shown]
	v_add_f32_e32 v54, v20, v21
	v_dual_add_f32 v4, v63, v86 :: v_dual_fmac_f32 v119, v53, v0
	v_add_f32_e32 v0, v55, v113
	v_fma_f32 v129, v155, v2, -v3
	v_sub_f32_e32 v2, v55, v113
	v_fma_f32 v16, v139, v16, -v17
	v_fma_f32 v17, v145, v18, -v19
	v_fmac_f32_e32 v85, v142, v14
	v_dual_fmac_f32 v109, v148, v12 :: v_dual_sub_f32 v6, v63, v86
	v_fma_f32 v125, v149, v12, -v13
	v_fma_f32 v126, v147, v10, -v11
	v_dual_fmac_f32 v99, v51, v8 :: v_dual_add_f32 v12, v158, v115
	v_fma_f32 v127, v52, v8, -v9
	v_dual_add_f32 v1, v57, v114 :: v_dual_sub_f32 v10, v159, v80
	v_sub_f32_e32 v7, v87, v76
	v_add_f32_e32 v8, v159, v80
	v_dual_sub_f32 v80, v2, v101 :: v_dual_add_f32 v5, v87, v76
	v_dual_add_f32 v9, v104, v98 :: v_dual_add_f32 v18, v73, v84
	v_add_f32_e32 v13, v100, v96
	v_fma_f32 v97, v143, v14, -v15
	v_dual_sub_f32 v3, v57, v114 :: v_dual_sub_f32 v52, v110, v83
	v_dual_sub_f32 v11, v104, v98 :: v_dual_sub_f32 v22, v73, v84
	;; [unrolled: 1-line block ×3, first 2 shown]
	v_add_f32_e32 v19, v75, v17
	v_dual_sub_f32 v17, v75, v17 :: v_dual_sub_f32 v20, v21, v20
	v_add_f32_e32 v23, v110, v83
	v_add_f32_e32 v51, v77, v16
	v_dual_sub_f32 v16, v77, v16 :: v_dual_add_f32 v53, v120, v78
	v_sub_f32_e32 v55, v78, v120
	v_dual_add_f32 v21, v4, v0 :: v_dual_add_f32 v98, v74, v14
	v_dual_add_f32 v76, v102, v7 :: v_dual_add_f32 v57, v5, v1
	v_dual_sub_f32 v73, v5, v1 :: v_dual_add_f32 v84, v12, v8
	v_sub_f32_e32 v78, v102, v7
	v_add_f32_e32 v86, v13, v9
	v_sub_f32_e32 v1, v1, v111
	v_sub_f32_e32 v5, v111, v5
	v_add_f32_e32 v75, v101, v6
	v_sub_f32_e32 v83, v3, v102
	v_sub_f32_e32 v7, v7, v3
	v_dual_sub_f32 v87, v12, v8 :: v_dual_sub_f32 v96, v13, v9
	v_dual_sub_f32 v8, v8, v105 :: v_dual_sub_f32 v77, v101, v6
	v_add_f32_e32 v110, v51, v19
	v_dual_sub_f32 v6, v6, v2 :: v_dual_sub_f32 v63, v4, v0
	v_add_f32_e32 v100, v71, v15
	v_sub_f32_e32 v0, v0, v72
	v_dual_sub_f32 v4, v72, v4 :: v_dual_sub_f32 v9, v9, v103
	v_add_f32_e32 v120, v20, v16
	v_dual_sub_f32 v12, v105, v12 :: v_dual_sub_f32 v13, v103, v13
	v_dual_sub_f32 v132, v17, v20 :: v_dual_sub_f32 v101, v74, v14
	v_sub_f32_e32 v114, v51, v19
	v_sub_f32_e32 v102, v71, v15
	;; [unrolled: 1-line block ×3, first 2 shown]
	v_dual_sub_f32 v14, v14, v10 :: v_dual_sub_f32 v15, v15, v11
	v_add_f32_e32 v104, v23, v18
	v_dual_sub_f32 v113, v23, v18 :: v_dual_sub_f32 v18, v18, v53
	v_sub_f32_e32 v19, v19, v54
	v_dual_sub_f32 v23, v53, v23 :: v_dual_sub_f32 v130, v55, v52
	v_sub_f32_e32 v51, v54, v51
	v_sub_f32_e32 v131, v20, v16
	v_dual_sub_f32 v133, v16, v17 :: v_dual_mul_f32 v78, 0x3f08b237, v78
	v_add_f32_e32 v16, v72, v21
	v_dual_add_f32 v20, v111, v57 :: v_dual_add_f32 v21, v105, v84
	v_dual_add_f32 v57, v103, v86 :: v_dual_mul_f32 v8, 0x3f4a47b2, v8
	v_sub_f32_e32 v71, v11, v71
	v_dual_add_f32 v115, v55, v52 :: v_dual_add_f32 v10, v98, v10
	v_dual_sub_f32 v55, v22, v55 :: v_dual_mul_f32 v86, 0x3d64c772, v4
	v_dual_add_f32 v72, v75, v2 :: v_dual_add_f32 v75, v76, v3
	v_mul_f32_e32 v76, 0x3f4a47b2, v0
	v_mul_f32_e32 v84, 0x3f4a47b2, v1
	;; [unrolled: 1-line block ×3, first 2 shown]
	v_dual_mul_f32 v77, 0x3f08b237, v77 :: v_dual_mul_f32 v102, 0x3f08b237, v102
	v_dual_add_f32 v11, v100, v11 :: v_dual_mul_f32 v134, 0xbf5ff5aa, v14
	v_dual_mul_f32 v100, 0xbf5ff5aa, v6 :: v_dual_mul_f32 v103, 0xbf5ff5aa, v7
	v_dual_add_f32 v54, v54, v110 :: v_dual_mul_f32 v9, 0x3f4a47b2, v9
	v_dual_mul_f32 v105, 0x3d64c772, v12 :: v_dual_add_f32 v110, v120, v17
	v_dual_mul_f32 v101, 0x3f08b237, v101 :: v_dual_mul_f32 v120, 0x3f08b237, v131
	v_add_f32_e32 v53, v53, v104
	v_dual_mul_f32 v17, 0x3f4a47b2, v18 :: v_dual_add_f32 v0, v34, v16
	v_mul_f32_e32 v18, 0x3f4a47b2, v19
	v_dual_mul_f32 v19, 0x3d64c772, v23 :: v_dual_add_f32 v2, v36, v21
	v_dual_add_f32 v1, v35, v20 :: v_dual_fmamk_f32 v34, v4, 0x3d64c772, v76
	v_dual_add_f32 v3, v37, v57 :: v_dual_sub_f32 v52, v52, v22
	v_mul_f32_e32 v111, 0x3d64c772, v13
	v_dual_mul_f32 v135, 0xbf5ff5aa, v15 :: v_dual_add_f32 v104, v115, v22
	v_fma_f32 v35, 0x3f3bfb3b, v63, -v86
	v_fma_f32 v36, 0xbf3bfb3b, v63, -v76
	v_fmamk_f32 v37, v5, 0x3d64c772, v84
	v_fma_f32 v63, 0x3f3bfb3b, v73, -v98
	v_fma_f32 v73, 0xbf3bfb3b, v73, -v84
	;; [unrolled: 1-line block ×3, first 2 shown]
	v_fmamk_f32 v77, v80, 0xbeae86e6, v77
	v_fma_f32 v80, 0x3eae86e6, v80, -v100
	v_fma_f32 v84, 0xbf5ff5aa, v7, -v78
	v_fmamk_f32 v78, v83, 0xbeae86e6, v78
	v_fma_f32 v83, 0x3eae86e6, v83, -v103
	v_dual_fmamk_f32 v6, v12, 0x3d64c772, v8 :: v_dual_add_f32 v5, v27, v54
	v_fma_f32 v7, 0x3f3bfb3b, v87, -v105
	v_fma_f32 v8, 0xbf3bfb3b, v87, -v8
	v_fmamk_f32 v12, v13, 0x3d64c772, v9
	v_fma_f32 v9, 0xbf3bfb3b, v96, -v9
	v_fma_f32 v87, 0xbf5ff5aa, v14, -v101
	;; [unrolled: 1-line block ×3, first 2 shown]
	v_fmamk_f32 v100, v23, 0x3d64c772, v17
	v_fma_f32 v103, 0xbf3bfb3b, v113, -v17
	v_dual_fmamk_f32 v14, v16, 0xbf955555, v0 :: v_dual_fmamk_f32 v17, v57, 0xbf955555, v3
	v_fmamk_f32 v86, v74, 0xbeae86e6, v101
	v_fma_f32 v74, 0x3eae86e6, v74, -v134
	v_dual_fmamk_f32 v15, v20, 0xbf955555, v1 :: v_dual_fmamk_f32 v16, v21, 0xbf955555, v2
	v_mul_f32_e32 v22, 0x3d64c772, v51
	v_dual_mul_f32 v115, 0x3f08b237, v130 :: v_dual_add_f32 v4, v26, v53
	v_dual_mul_f32 v130, 0xbf5ff5aa, v52 :: v_dual_mul_f32 v131, 0xbf5ff5aa, v133
	v_fma_f32 v13, 0x3f3bfb3b, v96, -v111
	v_fmamk_f32 v96, v71, 0xbeae86e6, v102
	v_fma_f32 v71, 0x3eae86e6, v71, -v135
	v_fmamk_f32 v51, v51, 0x3d64c772, v18
	v_fma_f32 v101, 0x3f3bfb3b, v113, -v19
	v_fma_f32 v105, 0xbf3bfb3b, v114, -v18
	v_dual_add_f32 v18, v34, v14 :: v_dual_fmac_f32 v77, 0xbee1c552, v72
	v_fmac_f32_e32 v78, 0xbee1c552, v75
	v_dual_fmac_f32 v76, 0xbee1c552, v72 :: v_dual_fmac_f32 v83, 0xbee1c552, v75
	v_dual_fmac_f32 v80, 0xbee1c552, v72 :: v_dual_fmac_f32 v87, 0xbee1c552, v10
	v_fmac_f32_e32 v84, 0xbee1c552, v75
	v_dual_fmac_f32 v74, 0xbee1c552, v10 :: v_dual_add_f32 v21, v63, v15
	v_dual_fmac_f32 v98, 0xbee1c552, v11 :: v_dual_add_f32 v19, v35, v14
	v_dual_add_f32 v35, v9, v17 :: v_dual_add_f32 v14, v36, v14
	v_add_f32_e32 v20, v37, v15
	v_dual_add_f32 v15, v73, v15 :: v_dual_add_f32 v26, v7, v16
	v_fma_f32 v102, 0x3f3bfb3b, v114, -v22
	v_dual_fmac_f32 v86, 0xbee1c552, v10 :: v_dual_fmac_f32 v71, 0xbee1c552, v11
	v_dual_fmac_f32 v96, 0xbee1c552, v11 :: v_dual_add_f32 v27, v13, v17
	v_dual_fmamk_f32 v53, v53, 0xbf955555, v4 :: v_dual_fmamk_f32 v54, v54, 0xbf955555, v5
	v_add_f32_e32 v37, v12, v17
	v_add_f32_e32 v34, v8, v16
	;; [unrolled: 1-line block ×3, first 2 shown]
	v_sub_f32_e32 v9, v15, v80
	v_dual_add_f32 v15, v80, v15 :: v_dual_add_f32 v36, v6, v16
	v_dual_sub_f32 v7, v20, v77 :: v_dual_add_f32 v6, v78, v18
	v_sub_f32_e32 v13, v21, v76
	v_dual_sub_f32 v10, v19, v84 :: v_dual_add_f32 v11, v76, v21
	v_dual_sub_f32 v14, v14, v83 :: v_dual_sub_f32 v21, v35, v74
	v_dual_sub_f32 v22, v26, v98 :: v_dual_fmamk_f32 v57, v55, 0xbeae86e6, v115
	v_dual_add_f32 v26, v98, v26 :: v_dual_fmamk_f32 v63, v132, 0xbeae86e6, v120
	v_add_f32_e32 v35, v74, v35
	v_fma_f32 v74, 0xbf5ff5aa, v52, -v115
	v_fma_f32 v73, 0xbf5ff5aa, v133, -v120
	;; [unrolled: 1-line block ×4, first 2 shown]
	v_dual_add_f32 v12, v84, v19 :: v_dual_add_f32 v17, v77, v20
	v_dual_sub_f32 v16, v18, v78 :: v_dual_add_f32 v23, v87, v27
	v_dual_add_f32 v18, v96, v36 :: v_dual_sub_f32 v27, v27, v87
	v_sub_f32_e32 v19, v37, v86
	v_dual_add_f32 v20, v71, v34 :: v_dual_add_f32 v37, v86, v37
	v_dual_sub_f32 v34, v34, v71 :: v_dual_add_f32 v77, v100, v53
	v_dual_sub_f32 v36, v36, v96 :: v_dual_add_f32 v83, v103, v53
	v_dual_add_f32 v78, v51, v54 :: v_dual_fmac_f32 v57, 0xbee1c552, v104
	v_dual_add_f32 v76, v101, v53 :: v_dual_fmac_f32 v63, 0xbee1c552, v110
	;; [unrolled: 1-line block ×3, first 2 shown]
	v_add_f32_e32 v84, v105, v54
	v_dual_fmac_f32 v74, 0xbee1c552, v104 :: v_dual_fmac_f32 v75, 0xbee1c552, v110
	v_dual_fmac_f32 v73, 0xbee1c552, v110 :: v_dual_sub_f32 v52, v78, v57
	s_delay_alu instid0(VALU_DEP_3) | instskip(NEXT) | instid1(VALU_DEP_3)
	v_dual_add_f32 v51, v63, v77 :: v_dual_sub_f32 v54, v84, v55
	v_dual_add_f32 v53, v75, v83 :: v_dual_add_f32 v72, v74, v80
	s_delay_alu instid0(VALU_DEP_3)
	v_sub_f32_e32 v71, v76, v73
	v_add_f32_e32 v73, v73, v76
	v_add_f32_e32 v76, v55, v84
	v_dual_sub_f32 v74, v80, v74 :: v_dual_sub_f32 v75, v83, v75
	v_dual_add_f32 v78, v57, v78 :: v_dual_sub_f32 v83, v112, v99
	v_dual_add_f32 v55, v82, v122 :: v_dual_add_f32 v80, v112, v99
	v_add_f32_e32 v57, v79, v126
	v_dual_sub_f32 v79, v79, v126 :: v_dual_add_f32 v84, v109, v85
	v_sub_f32_e32 v77, v77, v63
	v_dual_sub_f32 v63, v82, v122 :: v_dual_add_f32 v86, v125, v97
	v_add_f32_e32 v82, v81, v127
	v_dual_sub_f32 v85, v85, v109 :: v_dual_add_f32 v96, v80, v55
	v_dual_sub_f32 v87, v97, v125 :: v_dual_sub_f32 v98, v80, v55
	s_delay_alu instid0(VALU_DEP_3) | instskip(SKIP_1) | instid1(VALU_DEP_4)
	v_add_f32_e32 v97, v82, v57
	v_sub_f32_e32 v81, v81, v127
	v_dual_sub_f32 v99, v82, v57 :: v_dual_sub_f32 v102, v85, v83
	v_dual_sub_f32 v57, v57, v86 :: v_dual_sub_f32 v100, v84, v80
	v_sub_f32_e32 v82, v86, v82
	v_dual_add_f32 v80, v85, v83 :: v_dual_sub_f32 v55, v55, v84
	v_add_f32_e32 v86, v86, v97
	v_add_f32_e32 v101, v87, v81
	v_dual_sub_f32 v85, v63, v85 :: v_dual_mul_f32 v102, 0x3f08b237, v102
	v_dual_sub_f32 v83, v83, v63 :: v_dual_add_f32 v84, v84, v96
	v_mul_f32_e32 v57, 0x3f4a47b2, v57
	v_dual_add_f32 v63, v80, v63 :: v_dual_add_f32 v80, v157, v86
	v_dual_sub_f32 v103, v87, v81 :: v_dual_add_f32 v96, v101, v79
	v_sub_f32_e32 v87, v79, v87
	v_mul_f32_e32 v55, 0x3f4a47b2, v55
	v_sub_f32_e32 v81, v81, v79
	v_mul_f32_e32 v101, 0x3d64c772, v82
	v_dual_fmamk_f32 v86, v86, 0xbf955555, v80 :: v_dual_add_f32 v79, v156, v84
	v_mul_f32_e32 v104, 0xbf5ff5aa, v83
	v_fmamk_f32 v82, v82, 0x3d64c772, v57
	v_fma_f32 v57, 0xbf3bfb3b, v99, -v57
	v_fma_f32 v101, 0x3f3bfb3b, v99, -v101
	v_fmamk_f32 v84, v84, 0xbf955555, v79
	global_wb scope:SCOPE_SE
	s_barrier_signal -1
	v_add_f32_e32 v57, v57, v86
	v_mul_f32_e32 v103, 0x3f08b237, v103
	v_fmamk_f32 v109, v85, 0xbeae86e6, v102
	s_barrier_wait -1
	global_inv scope:SCOPE_SE
	ds_store_2addr_b64 v89, v[0:1], v[6:7] offset1:56
	ds_store_2addr_b64 v89, v[8:9], v[10:11] offset0:112 offset1:168
	v_fmamk_f32 v110, v87, 0xbeae86e6, v103
	v_fmac_f32_e32 v109, 0xbee1c552, v63
	v_dual_mul_f32 v97, 0x3d64c772, v100 :: v_dual_fmamk_f32 v100, v100, 0x3d64c772, v55
	v_fma_f32 v99, 0xbf5ff5aa, v81, -v103
	s_delay_alu instid0(VALU_DEP_4) | instskip(SKIP_1) | instid1(VALU_DEP_4)
	v_dual_add_f32 v103, v82, v86 :: v_dual_fmac_f32 v110, 0xbee1c552, v96
	v_lshl_add_u32 v6, v47, 3, 0
	v_dual_add_f32 v100, v100, v84 :: v_dual_mul_f32 v105, 0xbf5ff5aa, v81
	v_fma_f32 v55, 0xbf3bfb3b, v98, -v55
	s_delay_alu instid0(VALU_DEP_4)
	v_sub_f32_e32 v82, v103, v109
	v_fma_f32 v97, 0x3f3bfb3b, v98, -v97
	v_fma_f32 v98, 0xbf5ff5aa, v83, -v102
	;; [unrolled: 1-line block ×3, first 2 shown]
	v_add_f32_e32 v101, v101, v86
	v_fmac_f32_e32 v99, 0xbee1c552, v96
	s_delay_alu instid0(VALU_DEP_4) | instskip(NEXT) | instid1(VALU_DEP_4)
	v_dual_add_f32 v97, v97, v84 :: v_dual_fmac_f32 v98, 0xbee1c552, v63
	v_dual_fmac_f32 v102, 0xbee1c552, v63 :: v_dual_sub_f32 v63, v106, v124
	v_dual_add_f32 v81, v110, v100 :: v_dual_sub_f32 v100, v100, v110
	v_fma_f32 v87, 0x3eae86e6, v87, -v105
	s_delay_alu instid0(VALU_DEP_4) | instskip(NEXT) | instid1(VALU_DEP_4)
	v_dual_add_f32 v55, v55, v84 :: v_dual_add_f32 v86, v98, v101
	v_sub_f32_e32 v84, v57, v102
	s_delay_alu instid0(VALU_DEP_3) | instskip(SKIP_2) | instid1(VALU_DEP_3)
	v_dual_sub_f32 v104, v107, v119 :: v_dual_fmac_f32 v87, 0xbee1c552, v96
	v_dual_sub_f32 v85, v97, v99 :: v_dual_add_f32 v96, v99, v97
	v_dual_add_f32 v99, v102, v57 :: v_dual_add_f32 v102, v107, v119
	v_add_f32_e32 v83, v87, v55
	v_dual_sub_f32 v97, v101, v98 :: v_dual_sub_f32 v98, v55, v87
	v_dual_add_f32 v55, v106, v124 :: v_dual_add_f32 v106, v123, v118
	v_add_f32_e32 v57, v121, v129
	v_dual_sub_f32 v105, v108, v117 :: v_dual_add_nc_u32 v0, 0x1800, v6
	s_delay_alu instid0(VALU_DEP_3) | instskip(NEXT) | instid1(VALU_DEP_4)
	v_dual_add_f32 v110, v102, v55 :: v_dual_sub_f32 v87, v121, v129
	v_dual_sub_f32 v112, v102, v55 :: v_dual_sub_f32 v55, v55, v106
	v_sub_f32_e32 v102, v106, v102
	s_delay_alu instid0(VALU_DEP_3) | instskip(SKIP_1) | instid1(VALU_DEP_4)
	v_dual_add_f32 v106, v106, v110 :: v_dual_add_nc_u32 v7, 0xc00, v89
	v_add_nc_u32_e32 v1, 0x1c00, v6
	v_mul_f32_e32 v55, 0x3f4a47b2, v55
	s_delay_alu instid0(VALU_DEP_4) | instskip(SKIP_4) | instid1(VALU_DEP_4)
	v_dual_mul_f32 v110, 0x3d64c772, v102 :: v_dual_add_f32 v101, v109, v103
	v_dual_add_f32 v103, v108, v117 :: v_dual_sub_f32 v108, v118, v123
	v_add_f32_e32 v24, v24, v106
	v_add_f32_e32 v107, v128, v116
	v_dual_sub_f32 v109, v116, v128 :: v_dual_fmamk_f32 v102, v102, 0x3d64c772, v55
	v_add_f32_e32 v114, v108, v104
	v_sub_f32_e32 v116, v108, v104
	v_sub_f32_e32 v104, v104, v63
	v_fmamk_f32 v106, v106, 0xbf955555, v24
	v_fma_f32 v55, 0xbf3bfb3b, v112, -v55
	v_sub_f32_e32 v108, v63, v108
	v_fma_f32 v110, 0x3f3bfb3b, v112, -v110
	s_delay_alu instid0(VALU_DEP_4) | instskip(NEXT) | instid1(VALU_DEP_4)
	v_add_f32_e32 v118, v102, v106
	v_add_f32_e32 v55, v55, v106
	v_dual_add_f32 v63, v114, v63 :: v_dual_mul_f32 v114, 0x3f08b237, v116
	v_dual_mul_f32 v116, 0xbf5ff5aa, v104 :: v_dual_add_f32 v115, v109, v105
	v_sub_f32_e32 v113, v103, v57
	s_delay_alu instid0(VALU_DEP_2)
	v_fma_f32 v116, 0x3eae86e6, v108, -v116
	v_sub_f32_e32 v117, v109, v105
	v_sub_f32_e32 v109, v87, v109
	;; [unrolled: 1-line block ×3, first 2 shown]
	v_add_f32_e32 v87, v115, v87
	v_fmac_f32_e32 v116, 0xbee1c552, v63
	v_mul_f32_e32 v115, 0x3f08b237, v117
	v_add_f32_e32 v111, v103, v57
	v_sub_f32_e32 v57, v57, v107
	s_delay_alu instid0(VALU_DEP_3) | instskip(SKIP_1) | instid1(VALU_DEP_2)
	v_fmamk_f32 v112, v109, 0xbeae86e6, v115
	v_fma_f32 v115, 0xbf5ff5aa, v105, -v115
	v_fmac_f32_e32 v112, 0xbee1c552, v87
	v_sub_f32_e32 v103, v107, v103
	v_add_f32_e32 v107, v107, v111
	s_delay_alu instid0(VALU_DEP_4) | instskip(NEXT) | instid1(VALU_DEP_4)
	v_fmac_f32_e32 v115, 0xbee1c552, v87
	v_dual_mul_f32 v57, 0x3f4a47b2, v57 :: v_dual_add_f32 v102, v112, v118
	s_delay_alu instid0(VALU_DEP_4) | instskip(NEXT) | instid1(VALU_DEP_2)
	v_dual_mul_f32 v111, 0x3d64c772, v103 :: v_dual_sub_f32 v112, v118, v112
	v_fmamk_f32 v103, v103, 0x3d64c772, v57
	v_fma_f32 v57, 0xbf3bfb3b, v113, -v57
	s_delay_alu instid0(VALU_DEP_3) | instskip(SKIP_2) | instid1(VALU_DEP_2)
	v_fma_f32 v111, 0x3f3bfb3b, v113, -v111
	v_dual_fmamk_f32 v113, v108, 0xbeae86e6, v114 :: v_dual_add_f32 v108, v110, v106
	v_fma_f32 v114, 0xbf5ff5aa, v104, -v114
	v_sub_f32_e32 v106, v108, v115
	v_dual_add_f32 v108, v115, v108 :: v_dual_mul_f32 v117, 0xbf5ff5aa, v105
	s_delay_alu instid0(VALU_DEP_1) | instskip(NEXT) | instid1(VALU_DEP_1)
	v_fma_f32 v117, 0x3eae86e6, v109, -v117
	v_fmac_f32_e32 v117, 0xbee1c552, v87
	s_delay_alu instid0(VALU_DEP_1)
	v_add_f32_e32 v104, v117, v55
	v_sub_f32_e32 v110, v55, v117
	v_add_nc_u32_e32 v55, 0x400, v89
	ds_store_2addr_b64 v55, v[12:13], v[14:15] offset0:96 offset1:152
	ds_store_2addr_b64 v50, v[16:17], v[2:3] offset0:80 offset1:136
	ds_store_b64 v88, v[18:19]
	v_lshl_add_u32 v2, v46, 3, 0
	ds_store_2addr_b64 v7, v[20:21], v[22:23] offset0:120 offset1:176
	ds_store_2addr_b64 v42, v[26:27], v[34:35] offset0:104 offset1:160
	ds_store_b64 v89, v[36:37] offset:5824
	ds_store_2addr_b64 v0, v[4:5], v[51:52] offset0:16 offset1:72
	v_lshl_add_u32 v4, v45, 3, 0
	v_add_f32_e32 v25, v25, v107
	v_add_nc_u32_e32 v3, 0x2000, v2
	ds_store_2addr_b64 v0, v[53:54], v[71:72] offset0:128 offset1:184
	ds_store_2addr_b64 v1, v[73:74], v[75:76] offset0:112 offset1:168
	;; [unrolled: 1-line block ×3, first 2 shown]
	v_add_nc_u32_e32 v0, 0x3000, v4
	v_fmamk_f32 v107, v107, 0xbf955555, v25
	v_fmac_f32_e32 v113, 0xbee1c552, v63
	v_fmac_f32_e32 v114, 0xbee1c552, v63
	v_dual_mov_b32 v34, v49 :: v_dual_add_nc_u32 v5, 0x2800, v2
	s_delay_alu instid0(VALU_DEP_4)
	v_add_f32_e32 v119, v103, v107
	v_add_f32_e32 v109, v111, v107
	;; [unrolled: 1-line block ×3, first 2 shown]
	v_add_nc_u32_e32 v1, 0x3800, v4
	ds_store_2addr_b64 v5, v[83:84], v[85:86] offset0:8 offset1:64
	v_sub_f32_e32 v103, v119, v113
	v_add_f32_e32 v107, v114, v109
	v_sub_f32_e32 v105, v57, v116
	v_sub_f32_e32 v109, v109, v114
	v_add_f32_e32 v111, v116, v57
	ds_store_2addr_b64 v5, v[96:97], v[98:99] offset0:120 offset1:176
	ds_store_2addr_b64 v0, v[24:25], v[102:103] offset0:32 offset1:88
	;; [unrolled: 1-line block ×3, first 2 shown]
	ds_store_2addr_b64 v1, v[108:109], v[110:111] offset1:56
	v_lshlrev_b64_e32 v[0:1], 3, v[33:34]
	v_mov_b32_e32 v33, v49
	v_add_f32_e32 v113, v113, v119
	ds_store_b64 v6, v[77:78] offset:8960
	ds_store_b64 v2, v[100:101] offset:12096
	;; [unrolled: 1-line block ×3, first 2 shown]
	v_lshlrev_b64_e32 v[2:3], 3, v[32:33]
	v_add_co_u32 v0, s1, s8, v0
	s_wait_alu 0xf1ff
	v_add_co_ci_u32_e64 v1, s1, s9, v1, s1
	v_mov_b32_e32 v32, v49
	s_delay_alu instid0(VALU_DEP_4)
	v_add_co_u32 v2, s1, s8, v2
	s_wait_alu 0xf1ff
	v_add_co_ci_u32_e64 v3, s1, s9, v3, s1
	global_wb scope:SCOPE_SE
	s_wait_dscnt 0x0
	s_barrier_signal -1
	s_barrier_wait -1
	global_inv scope:SCOPE_SE
	s_clause 0x3
	global_load_b128 v[12:15], v[0:1], off offset:3104
	global_load_b128 v[16:19], v[0:1], off offset:3120
	;; [unrolled: 1-line block ×4, first 2 shown]
	v_lshlrev_b64_e32 v[0:1], 3, v[31:32]
	v_mov_b32_e32 v31, v49
	s_delay_alu instid0(VALU_DEP_2) | instskip(NEXT) | instid1(VALU_DEP_2)
	v_add_co_u32 v0, s1, s8, v0
	v_lshlrev_b64_e32 v[2:3], 3, v[30:31]
	s_wait_alu 0xf1ff
	s_delay_alu instid0(VALU_DEP_4)
	v_add_co_ci_u32_e64 v1, s1, s9, v1, s1
	v_mov_b32_e32 v30, v49
	s_clause 0x1
	global_load_b128 v[32:35], v[0:1], off offset:3104
	global_load_b128 v[50:53], v[0:1], off offset:3120
	v_add_co_u32 v0, s1, s8, v2
	s_wait_alu 0xf1ff
	v_add_co_ci_u32_e64 v1, s1, s9, v3, s1
	v_lshlrev_b64_e32 v[2:3], 3, v[29:30]
	v_mov_b32_e32 v29, v49
	s_clause 0x1
	global_load_b128 v[71:74], v[0:1], off offset:3104
	global_load_b128 v[75:78], v[0:1], off offset:3120
	v_add_co_u32 v0, s1, s8, v2
	s_wait_alu 0xf1ff
	v_add_co_ci_u32_e64 v1, s1, s9, v3, s1
	v_lshlrev_b64_e32 v[2:3], 3, v[28:29]
	s_clause 0x1
	global_load_b128 v[28:31], v[0:1], off offset:3104
	global_load_b128 v[79:82], v[0:1], off offset:3120
	v_add_co_u32 v0, s1, s8, v2
	s_wait_alu 0xf1ff
	v_add_co_ci_u32_e64 v1, s1, s9, v3, s1
	v_lshlrev_b64_e32 v[2:3], 3, v[48:49]
	s_clause 0x1
	global_load_b128 v[83:86], v[0:1], off offset:3104
	global_load_b128 v[96:99], v[0:1], off offset:3120
	v_add_co_u32 v0, s1, s8, v2
	s_wait_alu 0xf1ff
	v_add_co_ci_u32_e64 v1, s1, s9, v3, s1
	s_clause 0x1
	global_load_b128 v[100:103], v[0:1], off offset:3104
	global_load_b128 v[104:107], v[0:1], off offset:3120
	v_add_nc_u32_e32 v0, 0x1400, v89
	v_add_nc_u32_e32 v1, 0x2c00, v89
	ds_load_b64 v[36:37], v94
	ds_load_2addr_b64 v[45:48], v0 offset0:88 offset1:144
	v_add_nc_u32_e32 v0, 0x3400, v89
	ds_load_2addr_b64 v[108:111], v40 offset0:152 offset1:208
	ds_load_2addr_stride64_b64 v[112:115], v89 offset1:7
	ds_load_2addr_b64 v[116:119], v1 offset0:104 offset1:160
	ds_load_2addr_b64 v[120:123], v43 offset0:72 offset1:128
	;; [unrolled: 1-line block ×7, first 2 shown]
	ds_load_b64 v[10:11], v93
	ds_load_b64 v[8:9], v92
	;; [unrolled: 1-line block ×4, first 2 shown]
	ds_load_2addr_b64 v[144:147], v42 offset0:104 offset1:160
	ds_load_b64 v[2:3], v38
	ds_load_b64 v[0:1], v95
	s_wait_loadcnt_dscnt 0xc0f
	v_mul_f32_e32 v149, v109, v17
	s_wait_dscnt 0xd
	v_dual_mul_f32 v17, v108, v17 :: v_dual_mul_f32 v150, v119, v19
	v_mul_f32_e32 v19, v118, v19
	s_wait_loadcnt 0xa
	v_mul_f32_e32 v153, v111, v25
	v_fmac_f32_e32 v149, v108, v16
	v_fma_f32 v108, v109, v16, -v17
	v_mul_f32_e32 v16, v110, v25
	s_wait_dscnt 0xc
	v_mul_f32_e32 v152, v121, v23
	v_dual_mul_f32 v23, v120, v23 :: v_dual_fmac_f32 v150, v118, v18
	v_fma_f32 v109, v119, v18, -v19
	v_fmac_f32_e32 v153, v110, v24
	v_fma_f32 v110, v111, v24, -v16
	ds_load_2addr_b64 v[16:19], v40 offset0:40 offset1:96
	v_mul_f32_e32 v151, v115, v21
	v_mul_f32_e32 v21, v114, v21
	s_wait_loadcnt_dscnt 0x90b
	v_mul_f32_e32 v24, v128, v33
	v_dual_mul_f32 v148, v15, v48 :: v_dual_mul_f32 v87, v13, v37
	v_fmac_f32_e32 v151, v114, v20
	v_fma_f32 v114, v115, v20, -v21
	v_mul_f32_e32 v20, v124, v27
	s_delay_alu instid0(VALU_DEP_4)
	v_fmac_f32_e32 v148, v14, v47
	v_mul_f32_e32 v21, v122, v35
	v_mul_f32_e32 v13, v13, v36
	v_dual_mul_f32 v15, v15, v47 :: v_dual_mul_f32 v118, v129, v33
	v_fmac_f32_e32 v87, v12, v36
	v_fmac_f32_e32 v152, v120, v22
	v_fma_f32 v119, v123, v34, -v21
	s_wait_loadcnt_dscnt 0x80a
	v_mul_f32_e32 v120, v133, v51
	v_fmac_f32_e32 v118, v128, v32
	s_wait_loadcnt_dscnt 0x608
	v_mul_f32_e32 v128, v141, v78
	s_delay_alu instid0(VALU_DEP_3) | instskip(NEXT) | instid1(VALU_DEP_2)
	v_fmac_f32_e32 v120, v132, v50
	v_fmac_f32_e32 v128, v140, v77
	s_wait_loadcnt 0x1
	v_mul_f32_e32 v42, v46, v101
	v_fma_f32 v115, v121, v22, -v23
	v_fma_f32 v121, v129, v32, -v24
	v_mul_f32_e32 v24, v126, v53
	s_wait_loadcnt 0x0
	v_mul_f32_e32 v44, v117, v105
	v_mul_f32_e32 v25, v125, v27
	v_mul_f32_e32 v111, v123, v35
	v_fma_f32 v35, v125, v26, -v20
	v_fma_f32 v125, v127, v52, -v24
	v_fmac_f32_e32 v44, v116, v104
	v_mul_f32_e32 v24, v136, v74
	v_dual_fmac_f32 v25, v124, v26 :: v_dual_fmac_f32 v42, v45, v100
	v_mul_f32_e32 v124, v137, v74
	s_wait_dscnt 0x3
	v_mul_f32_e32 v74, v145, v29
	v_fma_f32 v129, v137, v73, -v24
	v_mul_f32_e32 v24, v144, v29
	ds_load_2addr_b64 v[20:23], v39 offset0:56 offset1:112
	v_fmac_f32_e32 v124, v136, v73
	v_dual_mul_f32 v26, v132, v51 :: v_dual_fmac_f32 v111, v122, v34
	v_fma_f32 v55, v145, v28, -v24
	v_mul_f32_e32 v24, v142, v82
	v_fma_f32 v36, v12, v37, -v13
	v_fma_f32 v37, v14, v48, -v15
	ds_load_2addr_b64 v[12:15], v41 offset0:120 offset1:176
	v_fma_f32 v122, v133, v50, -v26
	v_mul_f32_e32 v26, v130, v72
	s_wait_dscnt 0x2
	v_dual_mul_f32 v123, v131, v72 :: v_dual_mul_f32 v50, v17, v86
	v_dual_mul_f32 v41, v19, v103 :: v_dual_fmac_f32 v74, v144, v28
	v_fma_f32 v72, v143, v81, -v24
	v_sub_f32_e32 v24, v148, v149
	s_delay_alu instid0(VALU_DEP_3)
	v_dual_fmac_f32 v50, v16, v85 :: v_dual_fmac_f32 v41, v18, v102
	v_add_f32_e32 v29, v10, v151
	s_wait_dscnt 0x1
	v_mul_f32_e32 v54, v21, v99
	v_add_f32_e32 v32, v151, v25
	v_add_f32_e32 v34, v115, v110
	global_wb scope:SCOPE_SE
	s_wait_dscnt 0x0
	s_barrier_signal -1
	v_fmac_f32_e32 v54, v20, v98
	s_barrier_wait -1
	global_inv scope:SCOPE_SE
	v_mul_f32_e32 v73, v13, v80
	v_mul_f32_e32 v51, v15, v97
	s_delay_alu instid0(VALU_DEP_2) | instskip(SKIP_1) | instid1(VALU_DEP_3)
	v_fmac_f32_e32 v73, v12, v79
	v_mul_f32_e32 v12, v12, v80
	v_dual_fmac_f32 v51, v14, v96 :: v_dual_sub_f32 v80, v125, v122
	s_delay_alu instid0(VALU_DEP_2) | instskip(SKIP_4) | instid1(VALU_DEP_4)
	v_fma_f32 v63, v13, v79, -v12
	v_dual_mul_f32 v13, v14, v97 :: v_dual_mul_f32 v12, v16, v86
	v_mul_f32_e32 v14, v18, v103
	v_sub_f32_e32 v18, v150, v149
	v_dual_fmac_f32 v123, v130, v71 :: v_dual_sub_f32 v16, v87, v148
	v_fma_f32 v49, v15, v96, -v13
	v_mul_f32_e32 v13, v45, v101
	v_fma_f32 v48, v17, v85, -v12
	v_dual_sub_f32 v17, v37, v108 :: v_dual_mul_f32 v12, v20, v99
	v_fma_f32 v40, v19, v102, -v14
	s_delay_alu instid0(VALU_DEP_4) | instskip(SKIP_4) | instid1(VALU_DEP_4)
	v_fma_f32 v39, v46, v100, -v13
	v_mul_f32_e32 v46, v23, v107
	v_dual_mul_f32 v33, v127, v53 :: v_dual_add_f32 v14, v112, v87
	v_sub_f32_e32 v15, v36, v109
	v_add_f32_e32 v19, v87, v150
	v_fmac_f32_e32 v46, v22, v106
	s_delay_alu instid0(VALU_DEP_4)
	v_fmac_f32_e32 v33, v126, v52
	v_fma_f32 v126, v131, v71, -v26
	v_mul_f32_e32 v26, v134, v76
	v_fma_f32 v52, v21, v98, -v12
	v_add_f32_e32 v12, v148, v149
	v_add_f32_e32 v21, v16, v18
	v_dual_mul_f32 v127, v135, v76 :: v_dual_mul_f32 v20, v22, v107
	v_fma_f32 v130, v135, v75, -v26
	v_mul_f32_e32 v26, v138, v31
	v_fma_f32 v12, -0.5, v12, v112
	v_fma_f32 v16, -0.5, v19, v112
	v_add_f32_e32 v22, v113, v36
	v_mul_f32_e32 v53, v147, v84
	v_fma_f32 v57, v139, v30, -v26
	v_mul_f32_e32 v26, v146, v84
	v_fmamk_f32 v18, v17, 0x3f737871, v16
	v_fmac_f32_e32 v16, 0xbf737871, v17
	v_add_f32_e32 v28, v152, v153
	v_fma_f32 v45, v23, v106, -v20
	v_fma_f32 v47, v147, v83, -v26
	v_dual_sub_f32 v26, v109, v108 :: v_dual_mul_f32 v13, v116, v105
	v_sub_f32_e32 v19, v149, v150
	v_sub_f32_e32 v76, v121, v125
	v_sub_f32_e32 v99, v57, v63
	v_add_f32_e32 v79, v119, v122
	v_fma_f32 v43, v117, v104, -v13
	v_dual_add_f32 v13, v14, v148 :: v_dual_fmamk_f32 v14, v15, 0xbf737871, v12
	v_dual_add_f32 v85, v123, v128 :: v_dual_add_f32 v102, v57, v63
	s_delay_alu instid0(VALU_DEP_2) | instskip(NEXT) | instid1(VALU_DEP_3)
	v_dual_add_f32 v98, v4, v74 :: v_dual_add_f32 v13, v13, v149
	v_dual_fmac_f32 v14, 0xbf167918, v17 :: v_dual_mul_f32 v71, v139, v31
	v_sub_f32_e32 v31, v25, v153
	v_add_f32_e32 v86, v129, v130
	s_delay_alu instid0(VALU_DEP_3)
	v_dual_fmac_f32 v14, 0x3e9e377a, v21 :: v_dual_fmac_f32 v71, v138, v30
	v_dual_sub_f32 v30, v114, v35 :: v_dual_mul_f32 v27, v140, v78
	v_fmac_f32_e32 v12, 0x3f737871, v15
	v_fmac_f32_e32 v18, 0xbf167918, v15
	;; [unrolled: 1-line block ×3, first 2 shown]
	v_add_f32_e32 v78, v118, v33
	v_fma_f32 v131, v141, v77, -v27
	v_fmac_f32_e32 v12, 0x3f167918, v17
	v_add_f32_e32 v17, v22, v37
	v_sub_f32_e32 v22, v36, v37
	v_sub_f32_e32 v27, v108, v109
	s_delay_alu instid0(VALU_DEP_4) | instskip(NEXT) | instid1(VALU_DEP_3)
	v_dual_fmac_f32 v53, v146, v83 :: v_dual_fmac_f32 v12, 0x3e9e377a, v21
	v_dual_add_f32 v21, v17, v108 :: v_dual_add_f32 v26, v22, v26
	v_dual_sub_f32 v22, v37, v36 :: v_dual_add_f32 v17, v36, v109
	v_sub_f32_e32 v36, v35, v110
	v_sub_f32_e32 v83, v129, v130
	;; [unrolled: 1-line block ×3, first 2 shown]
	s_delay_alu instid0(VALU_DEP_4)
	v_add_f32_e32 v27, v22, v27
	v_fma_f32 v22, -0.5, v28, v10
	v_add_f32_e32 v23, v37, v108
	v_dual_sub_f32 v28, v151, v152 :: v_dual_fmac_f32 v127, v134, v75
	v_dual_add_f32 v20, v13, v150 :: v_dual_sub_f32 v13, v148, v87
	v_fma_f32 v10, -0.5, v32, v10
	v_mul_f32_e32 v75, v143, v82
	v_fma_f32 v17, -0.5, v17, v113
	s_delay_alu instid0(VALU_DEP_4)
	v_dual_add_f32 v32, v11, v114 :: v_dual_add_f32 v19, v13, v19
	v_fma_f32 v13, -0.5, v23, v113
	v_sub_f32_e32 v23, v87, v150
	v_fmac_f32_e32 v75, v142, v81
	v_add_f32_e32 v31, v28, v31
	v_fmac_f32_e32 v18, 0x3e9e377a, v19
	v_fmac_f32_e32 v16, 0x3e9e377a, v19
	v_fmamk_f32 v15, v23, 0x3f737871, v13
	v_fmac_f32_e32 v13, 0xbf737871, v23
	v_fmamk_f32 v19, v24, 0xbf737871, v17
	v_fmac_f32_e32 v17, 0x3f737871, v24
	v_dual_add_f32 v37, v8, v118 :: v_dual_add_f32 v82, v6, v123
	v_fmac_f32_e32 v15, 0x3f167918, v24
	v_fmac_f32_e32 v13, 0xbf167918, v24
	v_fmamk_f32 v24, v30, 0xbf737871, v22
	v_fmac_f32_e32 v22, 0x3f737871, v30
	v_fmac_f32_e32 v19, 0x3f167918, v23
	;; [unrolled: 1-line block ×3, first 2 shown]
	v_dual_fmac_f32 v13, 0x3e9e377a, v26 :: v_dual_add_f32 v26, v29, v152
	v_sub_f32_e32 v29, v115, v110
	v_fmac_f32_e32 v17, 0xbf167918, v23
	v_add_f32_e32 v81, v124, v127
	v_sub_f32_e32 v87, v126, v129
	v_add_f32_e32 v23, v26, v153
	v_fmac_f32_e32 v24, 0xbf167918, v29
	v_fmamk_f32 v26, v29, 0x3f737871, v10
	v_fmac_f32_e32 v22, 0x3f167918, v29
	v_dual_fmac_f32 v10, 0xbf737871, v29 :: v_dual_add_f32 v29, v32, v115
	v_sub_f32_e32 v32, v114, v115
	v_dual_add_f32 v28, v23, v25 :: v_dual_sub_f32 v23, v152, v151
	s_delay_alu instid0(VALU_DEP_3) | instskip(SKIP_1) | instid1(VALU_DEP_4)
	v_dual_fmac_f32 v10, 0x3f167918, v30 :: v_dual_add_f32 v21, v21, v109
	v_fmac_f32_e32 v26, 0xbf167918, v30
	v_dual_add_f32 v32, v32, v36 :: v_dual_fmac_f32 v19, 0x3e9e377a, v27
	v_dual_add_f32 v36, v111, v120 :: v_dual_fmac_f32 v17, 0x3e9e377a, v27
	v_dual_sub_f32 v27, v153, v25 :: v_dual_add_f32 v30, v114, v35
	v_fmac_f32_e32 v24, 0x3e9e377a, v31
	v_dual_fmac_f32 v22, 0x3e9e377a, v31 :: v_dual_sub_f32 v31, v152, v153
	s_delay_alu instid0(VALU_DEP_3) | instskip(SKIP_3) | instid1(VALU_DEP_4)
	v_add_f32_e32 v27, v23, v27
	v_fma_f32 v23, -0.5, v34, v11
	v_dual_sub_f32 v34, v151, v25 :: v_dual_fmac_f32 v11, -0.5, v30
	v_sub_f32_e32 v30, v115, v114
	v_fmac_f32_e32 v26, 0x3e9e377a, v27
	v_fmac_f32_e32 v10, 0x3e9e377a, v27
	s_delay_alu instid0(VALU_DEP_4) | instskip(SKIP_3) | instid1(VALU_DEP_4)
	v_fmamk_f32 v25, v34, 0x3f737871, v23
	v_fmac_f32_e32 v23, 0xbf737871, v34
	v_fmamk_f32 v27, v31, 0xbf737871, v11
	v_dual_fmac_f32 v11, 0x3f737871, v31 :: v_dual_sub_f32 v96, v131, v130
	v_fmac_f32_e32 v25, 0x3f167918, v31
	s_delay_alu instid0(VALU_DEP_4)
	v_fmac_f32_e32 v23, 0xbf167918, v31
	v_add_f32_e32 v31, v37, v111
	v_sub_f32_e32 v37, v119, v122
	v_add_f32_e32 v29, v29, v110
	v_fmac_f32_e32 v27, 0x3f167918, v34
	v_fmac_f32_e32 v11, 0xbf167918, v34
	v_add_f32_e32 v31, v31, v120
	v_dual_fmac_f32 v23, 0x3e9e377a, v32 :: v_dual_sub_f32 v84, v128, v127
	v_add_f32_e32 v29, v29, v35
	v_sub_f32_e32 v35, v110, v35
	v_dual_add_f32 v87, v87, v96 :: v_dual_sub_f32 v96, v130, v131
	v_sub_f32_e32 v100, v75, v73
	v_add_f32_e32 v97, v71, v73
	s_delay_alu instid0(VALU_DEP_4) | instskip(SKIP_3) | instid1(VALU_DEP_4)
	v_add_f32_e32 v35, v30, v35
	v_fma_f32 v30, -0.5, v36, v8
	v_sub_f32_e32 v36, v118, v111
	v_fma_f32 v8, -0.5, v78, v8
	v_dual_add_f32 v78, v9, v121 :: v_dual_fmac_f32 v27, 0x3e9e377a, v35
	v_fmac_f32_e32 v11, 0x3e9e377a, v35
	s_delay_alu instid0(VALU_DEP_4) | instskip(SKIP_4) | instid1(VALU_DEP_2)
	v_add_f32_e32 v77, v36, v77
	v_add_f32_e32 v36, v31, v33
	v_dual_fmamk_f32 v34, v37, 0x3f737871, v8 :: v_dual_sub_f32 v31, v111, v118
	v_sub_f32_e32 v35, v120, v33
	v_dual_fmac_f32 v8, 0xbf737871, v37 :: v_dual_add_f32 v101, v74, v75
	v_dual_fmac_f32 v34, 0xbf167918, v76 :: v_dual_add_f32 v35, v31, v35
	s_delay_alu instid0(VALU_DEP_2)
	v_fmac_f32_e32 v8, 0x3f167918, v76
	v_fmac_f32_e32 v25, 0x3e9e377a, v32
	v_fmamk_f32 v32, v76, 0xbf737871, v30
	v_fmac_f32_e32 v30, 0x3f737871, v76
	v_add_f32_e32 v76, v121, v125
	v_fmac_f32_e32 v8, 0x3e9e377a, v35
	v_fma_f32 v31, -0.5, v79, v9
	v_fmac_f32_e32 v32, 0xbf167918, v37
	v_dual_fmac_f32 v30, 0x3f167918, v37 :: v_dual_add_f32 v37, v78, v119
	v_dual_sub_f32 v78, v121, v119 :: v_dual_fmac_f32 v9, -0.5, v76
	v_sub_f32_e32 v76, v119, v121
	s_delay_alu instid0(VALU_DEP_4) | instskip(NEXT) | instid1(VALU_DEP_4)
	v_fmac_f32_e32 v32, 0x3e9e377a, v77
	v_fmac_f32_e32 v30, 0x3e9e377a, v77
	s_delay_alu instid0(VALU_DEP_4) | instskip(SKIP_2) | instid1(VALU_DEP_2)
	v_add_f32_e32 v78, v78, v80
	v_dual_sub_f32 v80, v122, v125 :: v_dual_sub_f32 v77, v111, v120
	v_fmac_f32_e32 v34, 0x3e9e377a, v35
	v_add_f32_e32 v80, v76, v80
	v_fma_f32 v76, -0.5, v81, v6
	v_fma_f32 v6, -0.5, v85, v6
	v_sub_f32_e32 v79, v118, v33
	v_fmamk_f32 v35, v77, 0xbf737871, v9
	v_fmac_f32_e32 v9, 0x3f737871, v77
	v_sub_f32_e32 v81, v126, v131
	v_add_f32_e32 v85, v7, v126
	v_fmamk_f32 v33, v79, 0x3f737871, v31
	v_fmac_f32_e32 v31, 0xbf737871, v79
	v_fmac_f32_e32 v35, 0x3f167918, v79
	;; [unrolled: 1-line block ×3, first 2 shown]
	s_delay_alu instid0(VALU_DEP_4) | instskip(NEXT) | instid1(VALU_DEP_4)
	v_fmac_f32_e32 v33, 0x3f167918, v77
	v_fmac_f32_e32 v31, 0xbf167918, v77
	v_add_f32_e32 v77, v82, v124
	v_sub_f32_e32 v82, v123, v124
	v_fmac_f32_e32 v35, 0x3e9e377a, v80
	v_fmac_f32_e32 v33, 0x3e9e377a, v78
	;; [unrolled: 1-line block ×3, first 2 shown]
	v_add_f32_e32 v77, v77, v127
	v_dual_fmamk_f32 v78, v81, 0xbf737871, v76 :: v_dual_add_f32 v79, v82, v84
	v_fmac_f32_e32 v9, 0x3e9e377a, v80
	v_fmac_f32_e32 v76, 0x3f737871, v81
	s_delay_alu instid0(VALU_DEP_4) | instskip(SKIP_4) | instid1(VALU_DEP_4)
	v_add_f32_e32 v80, v77, v128
	v_dual_fmamk_f32 v82, v83, 0x3f737871, v6 :: v_dual_sub_f32 v77, v124, v123
	v_sub_f32_e32 v84, v127, v128
	v_fmac_f32_e32 v6, 0xbf737871, v83
	v_fmac_f32_e32 v76, 0x3f167918, v83
	;; [unrolled: 1-line block ×4, first 2 shown]
	v_add_f32_e32 v84, v77, v84
	v_dual_fmac_f32 v6, 0x3f167918, v81 :: v_dual_add_f32 v37, v37, v122
	v_dual_fmac_f32 v76, 0x3e9e377a, v79 :: v_dual_add_f32 v83, v85, v129
	s_delay_alu instid0(VALU_DEP_3) | instskip(NEXT) | instid1(VALU_DEP_3)
	v_fmac_f32_e32 v82, 0x3e9e377a, v84
	v_dual_fmac_f32 v6, 0x3e9e377a, v84 :: v_dual_add_f32 v37, v37, v125
	v_sub_f32_e32 v84, v129, v126
	v_fma_f32 v77, -0.5, v86, v7
	v_dual_fmac_f32 v78, 0x3e9e377a, v79 :: v_dual_add_f32 v81, v83, v130
	s_delay_alu instid0(VALU_DEP_3) | instskip(SKIP_3) | instid1(VALU_DEP_4)
	v_dual_add_f32 v83, v126, v131 :: v_dual_add_f32 v96, v84, v96
	v_fma_f32 v84, -0.5, v97, v4
	v_sub_f32_e32 v97, v55, v72
	v_dual_sub_f32 v85, v123, v128 :: v_dual_sub_f32 v86, v124, v127
	v_fmac_f32_e32 v7, -0.5, v83
	v_fma_f32 v4, -0.5, v101, v4
	v_add_f32_e32 v101, v5, v55
	s_delay_alu instid0(VALU_DEP_4) | instskip(SKIP_3) | instid1(VALU_DEP_4)
	v_fmamk_f32 v79, v85, 0x3f737871, v77
	v_fmac_f32_e32 v77, 0xbf737871, v85
	v_fmamk_f32 v83, v86, 0xbf737871, v7
	v_fmac_f32_e32 v7, 0x3f737871, v86
	v_fmac_f32_e32 v79, 0x3f167918, v86
	s_delay_alu instid0(VALU_DEP_4) | instskip(NEXT) | instid1(VALU_DEP_4)
	v_fmac_f32_e32 v77, 0xbf167918, v86
	v_fmac_f32_e32 v83, 0x3f167918, v85
	s_delay_alu instid0(VALU_DEP_4)
	v_fmac_f32_e32 v7, 0xbf167918, v85
	v_fmamk_f32 v86, v97, 0xbf737871, v84
	v_fmac_f32_e32 v79, 0x3e9e377a, v87
	v_fmac_f32_e32 v77, 0x3e9e377a, v87
	v_add_f32_e32 v87, v98, v71
	v_dual_sub_f32 v98, v74, v71 :: v_dual_fmac_f32 v83, 0x3e9e377a, v96
	v_fmac_f32_e32 v7, 0x3e9e377a, v96
	v_fmac_f32_e32 v84, 0x3f737871, v97
	s_delay_alu instid0(VALU_DEP_4) | instskip(NEXT) | instid1(VALU_DEP_4)
	v_add_f32_e32 v85, v87, v73
	v_dual_add_f32 v87, v98, v100 :: v_dual_fmamk_f32 v98, v99, 0x3f737871, v4
	v_sub_f32_e32 v100, v73, v75
	v_fmac_f32_e32 v4, 0xbf737871, v99
	s_delay_alu instid0(VALU_DEP_4)
	v_dual_add_f32 v96, v85, v75 :: v_dual_sub_f32 v85, v71, v74
	v_fmac_f32_e32 v86, 0xbf167918, v99
	v_fmac_f32_e32 v84, 0x3f167918, v99
	;; [unrolled: 1-line block ×3, first 2 shown]
	v_add_f32_e32 v99, v101, v57
	v_add_f32_e32 v100, v85, v100
	v_fma_f32 v85, -0.5, v102, v5
	v_sub_f32_e32 v74, v74, v75
	v_dual_fmac_f32 v4, 0x3f167918, v97 :: v_dual_add_f32 v97, v55, v72
	v_sub_f32_e32 v73, v71, v73
	v_sub_f32_e32 v71, v55, v57
	;; [unrolled: 1-line block ×3, first 2 shown]
	v_dual_sub_f32 v57, v63, v72 :: v_dual_fmac_f32 v86, 0x3e9e377a, v87
	v_fmac_f32_e32 v84, 0x3e9e377a, v87
	v_add_f32_e32 v75, v99, v63
	v_fmamk_f32 v87, v74, 0x3f737871, v85
	v_sub_f32_e32 v99, v72, v63
	v_fmac_f32_e32 v5, -0.5, v97
	v_fmac_f32_e32 v85, 0xbf737871, v74
	v_add_f32_e32 v55, v55, v57
	v_add_f32_e32 v57, v2, v53
	;; [unrolled: 1-line block ×3, first 2 shown]
	v_fmac_f32_e32 v87, 0x3f167918, v73
	v_add_f32_e32 v75, v71, v99
	v_fmamk_f32 v99, v73, 0xbf737871, v5
	v_fmac_f32_e32 v85, 0xbf167918, v73
	v_fmac_f32_e32 v5, 0x3f737871, v73
	v_dual_add_f32 v57, v57, v50 :: v_dual_fmac_f32 v98, 0x3e9e377a, v100
	v_dual_fmac_f32 v4, 0x3e9e377a, v100 :: v_dual_fmac_f32 v87, 0x3e9e377a, v75
	v_add_f32_e32 v63, v50, v51
	v_fmac_f32_e32 v99, 0x3f167918, v74
	v_fmac_f32_e32 v85, 0x3e9e377a, v75
	v_dual_sub_f32 v75, v53, v50 :: v_dual_sub_f32 v100, v54, v51
	v_fmac_f32_e32 v5, 0xbf167918, v74
	v_add_f32_e32 v57, v57, v51
	v_fma_f32 v71, -0.5, v63, v2
	v_sub_f32_e32 v63, v47, v52
	v_fmac_f32_e32 v99, 0x3e9e377a, v55
	v_dual_add_f32 v101, v53, v54 :: v_dual_add_f32 v74, v75, v100
	v_dual_fmac_f32 v5, 0x3e9e377a, v55 :: v_dual_add_f32 v100, v57, v54
	v_sub_f32_e32 v55, v50, v53
	v_sub_f32_e32 v57, v51, v54
	v_add_f32_e32 v75, v3, v47
	v_dual_fmamk_f32 v73, v63, 0xbf737871, v71 :: v_dual_sub_f32 v72, v48, v49
	v_fma_f32 v2, -0.5, v101, v2
	v_fmac_f32_e32 v71, 0x3f737871, v63
	v_add_f32_e32 v101, v48, v49
	v_add_f32_e32 v55, v55, v57
	;; [unrolled: 1-line block ×4, first 2 shown]
	v_fmac_f32_e32 v73, 0xbf167918, v72
	v_fmamk_f32 v102, v72, 0x3f737871, v2
	v_fmac_f32_e32 v2, 0xbf737871, v72
	v_fmac_f32_e32 v71, 0x3f167918, v72
	v_fma_f32 v72, -0.5, v101, v3
	v_sub_f32_e32 v53, v53, v54
	v_dual_add_f32 v54, v57, v49 :: v_dual_add_f32 v57, v47, v52
	v_fmac_f32_e32 v73, 0x3e9e377a, v74
	v_fmac_f32_e32 v102, 0xbf167918, v63
	;; [unrolled: 1-line block ×4, first 2 shown]
	v_fmamk_f32 v74, v53, 0x3f737871, v72
	v_dual_sub_f32 v50, v50, v51 :: v_dual_sub_f32 v51, v47, v48
	v_sub_f32_e32 v63, v52, v49
	v_fmac_f32_e32 v3, -0.5, v57
	v_dual_fmac_f32 v72, 0xbf737871, v53 :: v_dual_sub_f32 v47, v48, v47
	v_sub_f32_e32 v48, v49, v52
	v_add_f32_e32 v49, v41, v44
	v_dual_add_f32 v101, v54, v52 :: v_dual_fmac_f32 v74, 0x3f167918, v50
	v_add_f32_e32 v51, v51, v63
	v_fmamk_f32 v103, v50, 0xbf737871, v3
	v_fmac_f32_e32 v72, 0xbf167918, v50
	v_dual_add_f32 v48, v47, v48 :: v_dual_fmac_f32 v3, 0x3f737871, v50
	v_fma_f32 v47, -0.5, v49, v0
	v_sub_f32_e32 v52, v39, v45
	v_fmac_f32_e32 v102, 0x3e9e377a, v55
	v_fmac_f32_e32 v2, 0x3e9e377a, v55
	;; [unrolled: 1-line block ×3, first 2 shown]
	v_dual_fmac_f32 v103, 0x3f167918, v53 :: v_dual_add_f32 v50, v0, v42
	v_fmac_f32_e32 v72, 0x3e9e377a, v51
	v_fmac_f32_e32 v3, 0xbf167918, v53
	v_fmamk_f32 v49, v52, 0xbf737871, v47
	v_dual_sub_f32 v54, v40, v43 :: v_dual_sub_f32 v51, v42, v41
	v_sub_f32_e32 v53, v46, v44
	v_fmac_f32_e32 v47, 0x3f737871, v52
	v_add_f32_e32 v55, v42, v46
	s_delay_alu instid0(VALU_DEP_4) | instskip(NEXT) | instid1(VALU_DEP_4)
	v_dual_add_f32 v50, v50, v41 :: v_dual_fmac_f32 v49, 0xbf167918, v54
	v_add_f32_e32 v53, v51, v53
	s_delay_alu instid0(VALU_DEP_4) | instskip(NEXT) | instid1(VALU_DEP_4)
	v_fmac_f32_e32 v47, 0x3f167918, v54
	v_fma_f32 v0, -0.5, v55, v0
	s_delay_alu instid0(VALU_DEP_4)
	v_add_f32_e32 v50, v50, v44
	v_fmac_f32_e32 v103, 0x3e9e377a, v48
	v_fmac_f32_e32 v49, 0x3e9e377a, v53
	;; [unrolled: 1-line block ×3, first 2 shown]
	v_fmamk_f32 v53, v54, 0x3f737871, v0
	v_fmac_f32_e32 v0, 0xbf737871, v54
	v_dual_add_f32 v54, v1, v39 :: v_dual_fmac_f32 v3, 0x3e9e377a, v48
	v_dual_add_f32 v51, v50, v46 :: v_dual_add_f32 v48, v40, v43
	v_sub_f32_e32 v50, v41, v42
	v_sub_f32_e32 v55, v44, v46
	v_fmac_f32_e32 v53, 0xbf167918, v52
	v_fmac_f32_e32 v0, 0x3f167918, v52
	v_add_f32_e32 v52, v54, v40
	v_add_f32_e32 v54, v39, v45
	v_fma_f32 v48, -0.5, v48, v1
	v_sub_f32_e32 v42, v42, v46
	v_dual_add_f32 v46, v50, v55 :: v_dual_sub_f32 v41, v41, v44
	s_delay_alu instid0(VALU_DEP_4) | instskip(NEXT) | instid1(VALU_DEP_3)
	v_dual_fmac_f32 v1, -0.5, v54 :: v_dual_add_f32 v44, v52, v43
	v_fmamk_f32 v50, v42, 0x3f737871, v48
	s_delay_alu instid0(VALU_DEP_3)
	v_fmac_f32_e32 v53, 0x3e9e377a, v46
	v_fmac_f32_e32 v0, 0x3e9e377a, v46
	v_sub_f32_e32 v46, v39, v40
	v_sub_f32_e32 v52, v45, v43
	v_fmac_f32_e32 v48, 0xbf737871, v42
	v_dual_fmamk_f32 v54, v41, 0xbf737871, v1 :: v_dual_sub_f32 v39, v40, v39
	v_sub_f32_e32 v40, v43, v45
	v_fmac_f32_e32 v1, 0x3f737871, v41
	v_dual_fmac_f32 v50, 0x3f167918, v41 :: v_dual_add_f32 v43, v46, v52
	v_fmac_f32_e32 v48, 0xbf167918, v41
	s_delay_alu instid0(VALU_DEP_4) | instskip(NEXT) | instid1(VALU_DEP_4)
	v_dual_fmac_f32 v54, 0x3f167918, v42 :: v_dual_add_f32 v39, v39, v40
	v_dual_fmac_f32 v1, 0xbf167918, v42 :: v_dual_add_f32 v52, v44, v45
	s_delay_alu instid0(VALU_DEP_4) | instskip(NEXT) | instid1(VALU_DEP_4)
	v_fmac_f32_e32 v50, 0x3e9e377a, v43
	v_fmac_f32_e32 v48, 0x3e9e377a, v43
	s_delay_alu instid0(VALU_DEP_4) | instskip(NEXT) | instid1(VALU_DEP_4)
	v_fmac_f32_e32 v54, 0x3e9e377a, v39
	v_fmac_f32_e32 v1, 0x3e9e377a, v39
	ds_store_b64 v89, v[20:21]
	ds_store_b64 v89, v[14:15] offset:3136
	ds_store_b64 v89, v[18:19] offset:6272
	ds_store_b64 v89, v[16:17] offset:9408
	ds_store_b64 v89, v[12:13] offset:12544
	ds_store_b64 v93, v[28:29]
	ds_store_b64 v93, v[24:25] offset:3136
	ds_store_b64 v93, v[26:27] offset:6272
	ds_store_b64 v93, v[10:11] offset:9408
	ds_store_b64 v93, v[22:23] offset:12544
	;; [unrolled: 5-line block ×7, first 2 shown]
	global_wb scope:SCOPE_SE
	s_wait_dscnt 0x0
	s_barrier_signal -1
	s_barrier_wait -1
	global_inv scope:SCOPE_SE
	ds_load_b64 v[4:5], v89
	v_lshlrev_b32_e32 v0, 3, v56
                                        ; implicit-def: $vgpr3
                                        ; implicit-def: $vgpr7
	s_delay_alu instid0(VALU_DEP_1)
	v_sub_nc_u32_e32 v6, 0, v0
                                        ; implicit-def: $vgpr0_vgpr1
	v_cmpx_ne_u32_e32 0, v56
	s_wait_alu 0xfffe
	s_xor_b32 s4, exec_lo, s4
	s_cbranch_execz .LBB0_21
; %bb.20:
	ds_load_b64 v[2:3], v6 offset:15680
	s_wait_dscnt 0x0
	v_dual_mov_b32 v57, 0 :: v_dual_add_f32 v8, v3, v5
	s_delay_alu instid0(VALU_DEP_1) | instskip(SKIP_1) | instid1(VALU_DEP_3)
	v_lshlrev_b64_e32 v[0:1], 3, v[56:57]
	v_dual_sub_f32 v7, v4, v2 :: v_dual_add_f32 v2, v2, v4
	v_dual_sub_f32 v3, v5, v3 :: v_dual_mul_f32 v4, 0.5, v8
	s_delay_alu instid0(VALU_DEP_3) | instskip(SKIP_1) | instid1(VALU_DEP_4)
	v_add_co_u32 v0, s1, s8, v0
	s_wait_alu 0xf1ff
	v_add_co_ci_u32_e64 v1, s1, s9, v1, s1
	v_mul_f32_e32 v5, 0.5, v7
	v_mul_f32_e32 v3, 0.5, v3
	global_load_b64 v[0:1], v[0:1], off offset:15648
	s_wait_loadcnt 0x0
	v_mul_f32_e32 v7, v1, v5
	v_fma_f32 v8, v4, v1, v3
	v_fma_f32 v1, v4, v1, -v3
	s_delay_alu instid0(VALU_DEP_3) | instskip(SKIP_1) | instid1(VALU_DEP_4)
	v_fma_f32 v9, 0.5, v2, v7
	v_fma_f32 v2, v2, 0.5, -v7
	v_fma_f32 v7, -v0, v5, v8
	s_delay_alu instid0(VALU_DEP_4) | instskip(NEXT) | instid1(VALU_DEP_4)
	v_fma_f32 v3, -v0, v5, v1
	v_fmac_f32_e32 v9, v0, v4
	s_delay_alu instid0(VALU_DEP_4)
	v_fma_f32 v2, -v0, v4, v2
	v_dual_mov_b32 v0, v56 :: v_dual_mov_b32 v1, v57
                                        ; implicit-def: $vgpr4_vgpr5
	ds_store_b32 v89, v9
.LBB0_21:
	s_wait_alu 0xfffe
	s_and_not1_saveexec_b32 s1, s4
	s_cbranch_execz .LBB0_23
; %bb.22:
	s_wait_dscnt 0x0
	v_dual_mov_b32 v7, 0 :: v_dual_add_f32 v8, v4, v5
	v_sub_f32_e32 v2, v4, v5
	ds_load_b32 v0, v7 offset:7844
	v_mov_b32_e32 v3, v7
	s_wait_dscnt 0x0
	v_xor_b32_e32 v4, 0x80000000, v0
	v_mov_b32_e32 v0, 0
	v_mov_b32_e32 v1, 0
	ds_store_b32 v89, v8
	ds_store_b32 v7, v4 offset:7844
.LBB0_23:
	s_wait_alu 0xfffe
	s_or_b32 exec_lo, exec_lo, s1
	v_mov_b32_e32 v63, 0
	v_lshlrev_b64_e32 v[0:1], 3, v[0:1]
	s_add_nc_u64 s[4:5], s[8:9], 0x3d20
	s_wait_dscnt 0x0
	s_delay_alu instid0(VALU_DEP_2) | instskip(SKIP_1) | instid1(VALU_DEP_1)
	v_lshlrev_b64_e32 v[4:5], 3, v[62:63]
	v_mov_b32_e32 v71, v63
	v_lshlrev_b64_e32 v[8:9], 3, v[70:71]
	v_mov_b32_e32 v70, v63
	s_delay_alu instid0(VALU_DEP_4) | instskip(SKIP_2) | instid1(VALU_DEP_4)
	v_add_co_u32 v4, s1, s8, v4
	s_wait_alu 0xf1ff
	v_add_co_ci_u32_e64 v5, s1, s9, v5, s1
	v_add_co_u32 v8, s1, s8, v8
	s_wait_alu 0xf1ff
	v_add_co_ci_u32_e64 v9, s1, s9, v9, s1
	global_load_b64 v[4:5], v[4:5], off offset:15648
	v_lshlrev_b64_e32 v[10:11], 3, v[69:70]
	v_mov_b32_e32 v69, v63
	global_load_b64 v[8:9], v[8:9], off offset:15648
	v_add_co_u32 v10, s1, s8, v10
	s_wait_alu 0xf1ff
	v_add_co_ci_u32_e64 v11, s1, s9, v11, s1
	v_lshlrev_b64_e32 v[12:13], 3, v[68:69]
	v_mov_b32_e32 v68, v63
	global_load_b64 v[10:11], v[10:11], off offset:15648
	v_add_co_u32 v12, s1, s8, v12
	s_wait_alu 0xf1ff
	v_add_co_ci_u32_e64 v13, s1, s9, v13, s1
	;; [unrolled: 6-line block ×4, first 2 shown]
	v_lshlrev_b64_e32 v[18:19], 3, v[65:66]
	global_load_b64 v[16:17], v[16:17], off offset:15648
	ds_store_b32 v89, v7 offset:4
	ds_store_b64 v6, v[2:3] offset:15680
	v_add_co_u32 v2, s1, s8, v18
	s_wait_alu 0xf1ff
	v_add_co_ci_u32_e64 v3, s1, s9, v19, s1
	ds_load_b64 v[18:19], v93
	ds_load_b64 v[20:21], v6 offset:15232
	global_load_b64 v[2:3], v[2:3], off offset:15648
	s_wait_dscnt 0x0
	v_dual_add_f32 v22, v19, v21 :: v_dual_sub_f32 v7, v18, v20
	v_dual_sub_f32 v19, v19, v21 :: v_dual_add_f32 v20, v18, v20
	s_delay_alu instid0(VALU_DEP_2) | instskip(NEXT) | instid1(VALU_DEP_2)
	v_dual_mul_f32 v22, 0.5, v22 :: v_dual_mul_f32 v7, 0.5, v7
	v_mul_f32_e32 v19, 0.5, v19
	s_wait_loadcnt 0x6
	s_delay_alu instid0(VALU_DEP_2) | instskip(NEXT) | instid1(VALU_DEP_2)
	v_mul_f32_e32 v21, v5, v7
	v_fma_f32 v23, v22, v5, v19
	v_fma_f32 v5, v22, v5, -v19
	s_delay_alu instid0(VALU_DEP_3) | instskip(SKIP_1) | instid1(VALU_DEP_2)
	v_fma_f32 v18, 0.5, v20, v21
	v_fma_f32 v24, v20, 0.5, -v21
	v_fmac_f32_e32 v18, v4, v22
	v_fma_f32 v19, -v4, v7, v23
	v_fma_f32 v5, -v4, v7, v5
	s_delay_alu instid0(VALU_DEP_4)
	v_fma_f32 v4, -v4, v22, v24
	ds_store_b64 v93, v[18:19]
	ds_store_b64 v6, v[4:5] offset:15232
	ds_load_b64 v[4:5], v92
	ds_load_b64 v[18:19], v6 offset:14784
	s_wait_dscnt 0x0
	v_dual_mov_b32 v65, v63 :: v_dual_add_f32 v22, v5, v19
	s_delay_alu instid0(VALU_DEP_1) | instskip(SKIP_2) | instid1(VALU_DEP_3)
	v_lshlrev_b64_e32 v[20:21], 3, v[64:65]
	v_sub_f32_e32 v7, v4, v18
	v_dual_sub_f32 v5, v5, v19 :: v_dual_add_f32 v18, v4, v18
	v_add_co_u32 v20, s1, s8, v20
	s_wait_alu 0xf1ff
	s_delay_alu instid0(VALU_DEP_4)
	v_add_co_ci_u32_e64 v21, s1, s9, v21, s1
	v_mul_f32_e32 v7, 0.5, v7
	v_mul_f32_e32 v19, 0.5, v22
	s_wait_alu 0xfffe
	v_add_co_u32 v0, s1, s4, v0
	global_load_b64 v[20:21], v[20:21], off offset:15648
	s_wait_loadcnt 0x6
	v_mul_f32_e32 v22, v9, v7
	s_wait_alu 0xf1ff
	v_add_co_ci_u32_e64 v1, s1, s5, v1, s1
	s_delay_alu instid0(VALU_DEP_2) | instskip(SKIP_2) | instid1(VALU_DEP_3)
	v_fma_f32 v4, 0.5, v18, v22
	v_mul_f32_e32 v5, 0.5, v5
	v_fma_f32 v18, v18, 0.5, -v22
	v_fmac_f32_e32 v4, v8, v19
	s_delay_alu instid0(VALU_DEP_3) | instskip(SKIP_1) | instid1(VALU_DEP_2)
	v_fma_f32 v23, v19, v9, v5
	v_fma_f32 v9, v19, v9, -v5
	v_fma_f32 v5, -v8, v7, v23
	s_delay_alu instid0(VALU_DEP_2)
	v_fma_f32 v9, -v8, v7, v9
	v_fma_f32 v8, -v8, v19, v18
	global_load_b64 v[18:19], v[0:1], off offset:4032
	ds_store_b64 v92, v[4:5]
	ds_store_b64 v6, v[8:9] offset:14784
	ds_load_b64 v[4:5], v91
	ds_load_b64 v[7:8], v6 offset:14336
	s_wait_dscnt 0x0
	v_dual_sub_f32 v9, v4, v7 :: v_dual_add_f32 v22, v5, v8
	v_sub_f32_e32 v5, v5, v8
	s_delay_alu instid0(VALU_DEP_2) | instskip(NEXT) | instid1(VALU_DEP_3)
	v_dual_add_f32 v7, v4, v7 :: v_dual_mul_f32 v8, 0.5, v9
	v_mul_f32_e32 v9, 0.5, v22
	s_wait_loadcnt 0x6
	s_delay_alu instid0(VALU_DEP_2) | instskip(NEXT) | instid1(VALU_DEP_1)
	v_dual_mul_f32 v5, 0.5, v5 :: v_dual_mul_f32 v22, v11, v8
	v_fma_f32 v23, v9, v11, v5
	v_fma_f32 v11, v9, v11, -v5
	s_delay_alu instid0(VALU_DEP_3) | instskip(SKIP_1) | instid1(VALU_DEP_4)
	v_fma_f32 v4, 0.5, v7, v22
	v_fma_f32 v7, v7, 0.5, -v22
	v_fma_f32 v5, -v10, v8, v23
	s_delay_alu instid0(VALU_DEP_4) | instskip(NEXT) | instid1(VALU_DEP_4)
	v_fma_f32 v8, -v10, v8, v11
	v_fmac_f32_e32 v4, v10, v9
	s_delay_alu instid0(VALU_DEP_4)
	v_fma_f32 v7, -v10, v9, v7
	global_load_b64 v[9:10], v[0:1], off offset:4480
	ds_store_b64 v91, v[4:5]
	ds_store_b64 v6, v[7:8] offset:14336
	ds_load_b64 v[4:5], v90
	ds_load_b64 v[7:8], v6 offset:13888
	s_wait_dscnt 0x0
	v_dual_sub_f32 v11, v4, v7 :: v_dual_add_f32 v22, v5, v8
	v_sub_f32_e32 v5, v5, v8
	v_add_f32_e32 v7, v4, v7
	s_delay_alu instid0(VALU_DEP_3) | instskip(SKIP_1) | instid1(VALU_DEP_1)
	v_dual_mul_f32 v8, 0.5, v11 :: v_dual_mul_f32 v11, 0.5, v22
	s_wait_loadcnt 0x6
	v_dual_mul_f32 v5, 0.5, v5 :: v_dual_mul_f32 v22, v13, v8
	s_delay_alu instid0(VALU_DEP_1) | instskip(SKIP_1) | instid1(VALU_DEP_3)
	v_fma_f32 v23, v11, v13, v5
	v_fma_f32 v13, v11, v13, -v5
	v_fma_f32 v4, 0.5, v7, v22
	v_fma_f32 v7, v7, 0.5, -v22
	s_delay_alu instid0(VALU_DEP_4) | instskip(NEXT) | instid1(VALU_DEP_4)
	v_fma_f32 v5, -v12, v8, v23
	v_fma_f32 v8, -v12, v8, v13
	s_delay_alu instid0(VALU_DEP_4) | instskip(NEXT) | instid1(VALU_DEP_4)
	v_fmac_f32_e32 v4, v12, v11
	v_fma_f32 v7, -v12, v11, v7
	ds_store_b64 v90, v[4:5]
	ds_store_b64 v6, v[7:8] offset:13888
	global_load_b64 v[4:5], v[0:1], off offset:4928
	ds_load_b64 v[7:8], v38
	ds_load_b64 v[11:12], v6 offset:13440
	s_wait_dscnt 0x0
	v_dual_sub_f32 v13, v7, v11 :: v_dual_add_f32 v22, v8, v12
	v_dual_sub_f32 v8, v8, v12 :: v_dual_add_f32 v11, v7, v11
	s_delay_alu instid0(VALU_DEP_2) | instskip(NEXT) | instid1(VALU_DEP_2)
	v_dual_mul_f32 v12, 0.5, v13 :: v_dual_mul_f32 v13, 0.5, v22
	v_mul_f32_e32 v8, 0.5, v8
	s_wait_loadcnt 0x6
	s_delay_alu instid0(VALU_DEP_2) | instskip(NEXT) | instid1(VALU_DEP_2)
	v_mul_f32_e32 v22, v15, v12
	v_fma_f32 v23, v13, v15, v8
	v_fma_f32 v15, v13, v15, -v8
	s_delay_alu instid0(VALU_DEP_3) | instskip(SKIP_1) | instid1(VALU_DEP_4)
	v_fma_f32 v7, 0.5, v11, v22
	v_fma_f32 v11, v11, 0.5, -v22
	v_fma_f32 v8, -v14, v12, v23
	s_delay_alu instid0(VALU_DEP_4) | instskip(NEXT) | instid1(VALU_DEP_4)
	v_fma_f32 v12, -v14, v12, v15
	v_fmac_f32_e32 v7, v14, v13
	s_delay_alu instid0(VALU_DEP_4)
	v_fma_f32 v11, -v14, v13, v11
	global_load_b64 v[13:14], v[0:1], off offset:5376
	ds_store_b64 v38, v[7:8]
	ds_store_b64 v6, v[11:12] offset:13440
	ds_load_b64 v[7:8], v95
	ds_load_b64 v[11:12], v6 offset:12992
	s_wait_dscnt 0x0
	v_dual_sub_f32 v15, v7, v11 :: v_dual_add_f32 v22, v8, v12
	v_dual_sub_f32 v8, v8, v12 :: v_dual_add_f32 v11, v7, v11
	s_delay_alu instid0(VALU_DEP_2) | instskip(NEXT) | instid1(VALU_DEP_2)
	v_dual_mul_f32 v12, 0.5, v15 :: v_dual_mul_f32 v15, 0.5, v22
	v_mul_f32_e32 v8, 0.5, v8
	s_wait_loadcnt 0x6
	s_delay_alu instid0(VALU_DEP_2) | instskip(NEXT) | instid1(VALU_DEP_2)
	v_mul_f32_e32 v22, v17, v12
	v_fma_f32 v23, v15, v17, v8
	v_fma_f32 v17, v15, v17, -v8
	s_delay_alu instid0(VALU_DEP_3) | instskip(SKIP_1) | instid1(VALU_DEP_4)
	v_fma_f32 v7, 0.5, v11, v22
	v_fma_f32 v11, v11, 0.5, -v22
	v_fma_f32 v8, -v16, v12, v23
	s_delay_alu instid0(VALU_DEP_4) | instskip(NEXT) | instid1(VALU_DEP_4)
	v_fma_f32 v12, -v16, v12, v17
	v_fmac_f32_e32 v7, v16, v15
	s_delay_alu instid0(VALU_DEP_4)
	v_fma_f32 v11, -v16, v15, v11
	global_load_b64 v[15:16], v[0:1], off offset:5824
	ds_store_b64 v95, v[7:8]
	ds_store_b64 v6, v[11:12] offset:12992
	;; [unrolled: 25-line block ×3, first 2 shown]
	ds_load_b64 v[2:3], v88
	ds_load_b64 v[7:8], v6 offset:12096
	s_wait_dscnt 0x0
	v_dual_add_f32 v22, v3, v8 :: v_dual_sub_f32 v17, v2, v7
	v_sub_f32_e32 v3, v3, v8
	s_delay_alu instid0(VALU_DEP_2) | instskip(SKIP_1) | instid1(VALU_DEP_1)
	v_dual_add_f32 v7, v2, v7 :: v_dual_mul_f32 v8, 0.5, v17
	s_wait_loadcnt 0x6
	v_dual_mul_f32 v17, 0.5, v22 :: v_dual_mul_f32 v22, v21, v8
	s_delay_alu instid0(VALU_DEP_1) | instskip(SKIP_1) | instid1(VALU_DEP_2)
	v_fma_f32 v2, 0.5, v7, v22
	v_fma_f32 v7, v7, 0.5, -v22
	v_dual_fmac_f32 v2, v20, v17 :: v_dual_mul_f32 v3, 0.5, v3
	s_delay_alu instid0(VALU_DEP_2) | instskip(NEXT) | instid1(VALU_DEP_2)
	v_fma_f32 v7, -v20, v17, v7
	v_fma_f32 v23, v17, v21, v3
	v_fma_f32 v21, v17, v21, -v3
	s_delay_alu instid0(VALU_DEP_2) | instskip(NEXT) | instid1(VALU_DEP_2)
	v_fma_f32 v3, -v20, v8, v23
	v_fma_f32 v8, -v20, v8, v21
	global_load_b64 v[20:21], v[0:1], off offset:6720
	ds_store_b64 v88, v[2:3]
	ds_store_b64 v6, v[7:8] offset:12096
	ds_load_b64 v[2:3], v89 offset:4032
	ds_load_b64 v[7:8], v6 offset:11648
	s_wait_dscnt 0x0
	v_dual_sub_f32 v17, v2, v7 :: v_dual_add_f32 v22, v3, v8
	v_sub_f32_e32 v3, v3, v8
	s_delay_alu instid0(VALU_DEP_2) | instskip(SKIP_1) | instid1(VALU_DEP_1)
	v_dual_add_f32 v7, v2, v7 :: v_dual_mul_f32 v8, 0.5, v17
	s_wait_loadcnt 0x6
	v_dual_mul_f32 v17, 0.5, v22 :: v_dual_mul_f32 v22, v19, v8
	s_delay_alu instid0(VALU_DEP_1) | instskip(SKIP_1) | instid1(VALU_DEP_2)
	v_fma_f32 v2, 0.5, v7, v22
	v_fma_f32 v7, v7, 0.5, -v22
	v_dual_fmac_f32 v2, v18, v17 :: v_dual_mul_f32 v3, 0.5, v3
	s_delay_alu instid0(VALU_DEP_2) | instskip(NEXT) | instid1(VALU_DEP_2)
	v_fma_f32 v7, -v18, v17, v7
	v_fma_f32 v23, v17, v19, v3
	v_fma_f32 v19, v17, v19, -v3
	s_delay_alu instid0(VALU_DEP_2) | instskip(NEXT) | instid1(VALU_DEP_2)
	v_fma_f32 v3, -v18, v8, v23
	v_fma_f32 v8, -v18, v8, v19
	global_load_b64 v[17:18], v[0:1], off offset:7168
	ds_store_b64 v89, v[2:3] offset:4032
	ds_store_b64 v6, v[7:8] offset:11648
	ds_load_b64 v[2:3], v89 offset:4480
	ds_load_b64 v[7:8], v6 offset:11200
	s_wait_dscnt 0x0
	v_dual_sub_f32 v19, v2, v7 :: v_dual_add_f32 v22, v3, v8
	v_sub_f32_e32 v3, v3, v8
	v_add_f32_e32 v7, v2, v7
	s_delay_alu instid0(VALU_DEP_3) | instskip(SKIP_1) | instid1(VALU_DEP_1)
	v_dual_mul_f32 v8, 0.5, v19 :: v_dual_mul_f32 v19, 0.5, v22
	s_wait_loadcnt 0x6
	v_mul_f32_e32 v22, v10, v8
	s_delay_alu instid0(VALU_DEP_1) | instskip(SKIP_1) | instid1(VALU_DEP_2)
	v_fma_f32 v2, 0.5, v7, v22
	v_fma_f32 v7, v7, 0.5, -v22
	v_fmac_f32_e32 v2, v9, v19
	v_mul_f32_e32 v3, 0.5, v3
	s_delay_alu instid0(VALU_DEP_3) | instskip(NEXT) | instid1(VALU_DEP_2)
	v_fma_f32 v7, -v9, v19, v7
	v_fma_f32 v23, v19, v10, v3
	v_fma_f32 v10, v19, v10, -v3
	s_delay_alu instid0(VALU_DEP_2) | instskip(NEXT) | instid1(VALU_DEP_2)
	v_fma_f32 v3, -v9, v8, v23
	v_fma_f32 v8, -v9, v8, v10
	ds_store_b64 v89, v[2:3] offset:4480
	ds_store_b64 v6, v[7:8] offset:11200
	ds_load_b64 v[2:3], v89 offset:4928
	ds_load_b64 v[7:8], v6 offset:10752
	s_wait_dscnt 0x0
	v_dual_sub_f32 v9, v2, v7 :: v_dual_add_f32 v10, v3, v8
	v_sub_f32_e32 v3, v3, v8
	s_delay_alu instid0(VALU_DEP_2) | instskip(NEXT) | instid1(VALU_DEP_3)
	v_dual_add_f32 v7, v2, v7 :: v_dual_mul_f32 v8, 0.5, v9
	v_mul_f32_e32 v9, 0.5, v10
	s_wait_loadcnt 0x5
	s_delay_alu instid0(VALU_DEP_2) | instskip(NEXT) | instid1(VALU_DEP_1)
	v_dual_mul_f32 v3, 0.5, v3 :: v_dual_mul_f32 v10, v5, v8
	v_fma_f32 v19, v9, v5, v3
	v_fma_f32 v5, v9, v5, -v3
	s_delay_alu instid0(VALU_DEP_3) | instskip(SKIP_1) | instid1(VALU_DEP_4)
	v_fma_f32 v2, 0.5, v7, v10
	v_fma_f32 v7, v7, 0.5, -v10
	v_fma_f32 v3, -v4, v8, v19
	s_delay_alu instid0(VALU_DEP_4) | instskip(NEXT) | instid1(VALU_DEP_4)
	v_fma_f32 v5, -v4, v8, v5
	v_fmac_f32_e32 v2, v4, v9
	s_delay_alu instid0(VALU_DEP_4)
	v_fma_f32 v4, -v4, v9, v7
	ds_store_b64 v89, v[2:3] offset:4928
	ds_store_b64 v6, v[4:5] offset:10752
	ds_load_b64 v[2:3], v89 offset:5376
	ds_load_b64 v[4:5], v6 offset:10304
	s_wait_dscnt 0x0
	v_dual_sub_f32 v7, v2, v4 :: v_dual_add_f32 v8, v3, v5
	v_dual_sub_f32 v3, v3, v5 :: v_dual_add_f32 v4, v2, v4
	s_delay_alu instid0(VALU_DEP_2) | instskip(NEXT) | instid1(VALU_DEP_3)
	v_mul_f32_e32 v5, 0.5, v7
	v_mul_f32_e32 v7, 0.5, v8
	s_wait_loadcnt 0x4
	s_delay_alu instid0(VALU_DEP_2) | instskip(NEXT) | instid1(VALU_DEP_1)
	v_dual_mul_f32 v3, 0.5, v3 :: v_dual_mul_f32 v8, v14, v5
	v_fma_f32 v9, v7, v14, v3
	v_fma_f32 v10, v7, v14, -v3
	s_delay_alu instid0(VALU_DEP_3) | instskip(SKIP_1) | instid1(VALU_DEP_4)
	v_fma_f32 v2, 0.5, v4, v8
	v_fma_f32 v4, v4, 0.5, -v8
	v_fma_f32 v3, -v13, v5, v9
	s_delay_alu instid0(VALU_DEP_4) | instskip(NEXT) | instid1(VALU_DEP_4)
	v_fma_f32 v5, -v13, v5, v10
	v_fmac_f32_e32 v2, v13, v7
	s_delay_alu instid0(VALU_DEP_4)
	v_fma_f32 v4, -v13, v7, v4
	ds_store_b64 v89, v[2:3] offset:5376
	ds_store_b64 v6, v[4:5] offset:10304
	ds_load_b64 v[2:3], v89 offset:5824
	ds_load_b64 v[4:5], v6 offset:9856
	s_wait_dscnt 0x0
	v_dual_sub_f32 v7, v2, v4 :: v_dual_add_f32 v8, v3, v5
	v_dual_sub_f32 v3, v3, v5 :: v_dual_add_f32 v4, v2, v4
	s_delay_alu instid0(VALU_DEP_2) | instskip(NEXT) | instid1(VALU_DEP_3)
	v_mul_f32_e32 v5, 0.5, v7
	;; [unrolled: 24-line block ×5, first 2 shown]
	v_mul_f32_e32 v7, 0.5, v8
	s_wait_loadcnt 0x0
	s_delay_alu instid0(VALU_DEP_2) | instskip(NEXT) | instid1(VALU_DEP_1)
	v_dual_mul_f32 v3, 0.5, v3 :: v_dual_mul_f32 v8, v18, v5
	v_fma_f32 v9, v7, v18, v3
	v_fma_f32 v10, v7, v18, -v3
	s_delay_alu instid0(VALU_DEP_3) | instskip(SKIP_1) | instid1(VALU_DEP_4)
	v_fma_f32 v2, 0.5, v4, v8
	v_fma_f32 v4, v4, 0.5, -v8
	v_fma_f32 v3, -v17, v5, v9
	s_delay_alu instid0(VALU_DEP_4) | instskip(NEXT) | instid1(VALU_DEP_4)
	v_fma_f32 v5, -v17, v5, v10
	v_fmac_f32_e32 v2, v17, v7
	s_delay_alu instid0(VALU_DEP_4)
	v_fma_f32 v4, -v17, v7, v4
	ds_store_b64 v89, v[2:3] offset:7168
	ds_store_b64 v6, v[4:5] offset:8512
	s_and_saveexec_b32 s1, s0
	s_cbranch_execz .LBB0_25
; %bb.24:
	global_load_b64 v[0:1], v[0:1], off offset:7616
	ds_load_b64 v[2:3], v89 offset:7616
	ds_load_b64 v[4:5], v6 offset:8064
	s_wait_dscnt 0x0
	v_dual_sub_f32 v7, v2, v4 :: v_dual_add_f32 v8, v3, v5
	v_dual_sub_f32 v3, v3, v5 :: v_dual_add_f32 v2, v2, v4
	s_delay_alu instid0(VALU_DEP_2) | instskip(NEXT) | instid1(VALU_DEP_3)
	v_mul_f32_e32 v5, 0.5, v7
	v_mul_f32_e32 v7, 0.5, v8
	s_wait_loadcnt 0x0
	s_delay_alu instid0(VALU_DEP_2) | instskip(NEXT) | instid1(VALU_DEP_1)
	v_dual_mul_f32 v3, 0.5, v3 :: v_dual_mul_f32 v4, v1, v5
	v_fma_f32 v8, v7, v1, v3
	v_fma_f32 v3, v7, v1, -v3
	s_delay_alu instid0(VALU_DEP_3) | instskip(SKIP_1) | instid1(VALU_DEP_4)
	v_fma_f32 v1, 0.5, v2, v4
	v_fma_f32 v9, v2, 0.5, -v4
	v_fma_f32 v2, -v0, v5, v8
	s_delay_alu instid0(VALU_DEP_4) | instskip(NEXT) | instid1(VALU_DEP_4)
	v_fma_f32 v4, -v0, v5, v3
	v_fmac_f32_e32 v1, v0, v7
	s_delay_alu instid0(VALU_DEP_4)
	v_fma_f32 v3, -v0, v7, v9
	ds_store_b64 v89, v[1:2] offset:7616
	ds_store_b64 v6, v[3:4] offset:8064
.LBB0_25:
	s_wait_alu 0xfffe
	s_or_b32 exec_lo, exec_lo, s1
	global_wb scope:SCOPE_SE
	s_wait_dscnt 0x0
	s_barrier_signal -1
	s_barrier_wait -1
	global_inv scope:SCOPE_SE
	s_and_saveexec_b32 s0, vcc_lo
	s_cbranch_execz .LBB0_28
; %bb.26:
	v_mul_lo_u32 v2, s3, v60
	v_mul_lo_u32 v3, s2, v61
	v_mad_co_u64_u32 v[0:1], null, s2, v60, 0
	v_dual_mov_b32 v57, 0 :: v_dual_add_nc_u32 v12, 56, v56
	v_lshlrev_b64_e32 v[10:11], 3, v[58:59]
	v_lshl_add_u32 v28, v56, 3, 0
	s_delay_alu instid0(VALU_DEP_3)
	v_dual_mov_b32 v13, v57 :: v_dual_add_nc_u32 v14, 0x70, v56
	v_add3_u32 v1, v1, v3, v2
	v_lshlrev_b64_e32 v[16:17], 3, v[56:57]
	v_mov_b32_e32 v15, v57
	ds_load_2addr_b64 v[2:5], v28 offset1:56
	ds_load_2addr_b64 v[6:9], v28 offset0:112 offset1:168
	v_lshlrev_b64_e32 v[0:1], 3, v[0:1]
	v_lshlrev_b64_e32 v[12:13], 3, v[12:13]
	v_dual_mov_b32 v19, v57 :: v_dual_add_nc_u32 v20, 0x400, v28
	v_add_nc_u32_e32 v22, 0x3000, v28
	v_add_nc_u32_e32 v26, 0x770, v56
	v_add_co_u32 v0, vcc_lo, s6, v0
	s_wait_alu 0xfffd
	v_add_co_ci_u32_e32 v1, vcc_lo, s7, v1, vcc_lo
	v_add_nc_u32_e32 v18, 0xe0, v56
	s_delay_alu instid0(VALU_DEP_3) | instskip(SKIP_1) | instid1(VALU_DEP_3)
	v_add_co_u32 v0, vcc_lo, v0, v10
	s_wait_alu 0xfffd
	v_add_co_ci_u32_e32 v1, vcc_lo, v1, v11, vcc_lo
	v_lshlrev_b64_e32 v[10:11], 3, v[14:15]
	s_delay_alu instid0(VALU_DEP_3) | instskip(SKIP_1) | instid1(VALU_DEP_3)
	v_add_co_u32 v14, vcc_lo, v0, v16
	s_wait_alu 0xfffd
	v_add_co_ci_u32_e32 v15, vcc_lo, v1, v17, vcc_lo
	v_dual_mov_b32 v17, v57 :: v_dual_add_nc_u32 v16, 0xa8, v56
	v_add_co_u32 v12, vcc_lo, v0, v12
	s_wait_alu 0xfffd
	v_add_co_ci_u32_e32 v13, vcc_lo, v1, v13, vcc_lo
	s_delay_alu instid0(VALU_DEP_3) | instskip(SKIP_4) | instid1(VALU_DEP_4)
	v_lshlrev_b64_e32 v[16:17], 3, v[16:17]
	v_add_co_u32 v10, vcc_lo, v0, v10
	s_wait_alu 0xfffd
	v_add_co_ci_u32_e32 v11, vcc_lo, v1, v11, vcc_lo
	v_mov_b32_e32 v21, v57
	v_add_co_u32 v16, vcc_lo, v0, v16
	s_wait_alu 0xfffd
	v_add_co_ci_u32_e32 v17, vcc_lo, v1, v17, vcc_lo
	s_wait_dscnt 0x1
	s_clause 0x1
	global_store_b64 v[14:15], v[2:3], off
	global_store_b64 v[12:13], v[4:5], off
	s_wait_dscnt 0x0
	s_clause 0x1
	global_store_b64 v[10:11], v[6:7], off
	global_store_b64 v[16:17], v[8:9], off
	v_lshlrev_b64_e32 v[6:7], 3, v[18:19]
	ds_load_2addr_b64 v[2:5], v20 offset0:96 offset1:152
	v_dual_mov_b32 v9, v57 :: v_dual_add_nc_u32 v8, 0x118, v56
	v_dual_mov_b32 v17, v57 :: v_dual_add_nc_u32 v20, 0x800, v28
	v_add_co_u32 v12, vcc_lo, v0, v6
	v_dual_mov_b32 v11, v57 :: v_dual_add_nc_u32 v10, 0x150, v56
	s_wait_alu 0xfffd
	v_add_co_ci_u32_e32 v13, vcc_lo, v1, v7, vcc_lo
	v_lshlrev_b64_e32 v[14:15], 3, v[8:9]
	ds_load_2addr_b64 v[6:9], v20 offset0:80 offset1:136
	v_add_nc_u32_e32 v16, 0x188, v56
	v_lshlrev_b64_e32 v[10:11], 3, v[10:11]
	v_dual_mov_b32 v23, v57 :: v_dual_add_nc_u32 v18, 0x1c0, v56
	v_add_co_u32 v14, vcc_lo, v0, v14
	s_delay_alu instid0(VALU_DEP_4)
	v_lshlrev_b64_e32 v[16:17], 3, v[16:17]
	s_wait_alu 0xfffd
	v_add_co_ci_u32_e32 v15, vcc_lo, v1, v15, vcc_lo
	v_add_co_u32 v10, vcc_lo, v0, v10
	s_wait_alu 0xfffd
	v_add_co_ci_u32_e32 v11, vcc_lo, v1, v11, vcc_lo
	v_add_co_u32 v16, vcc_lo, v0, v16
	s_wait_alu 0xfffd
	v_add_co_ci_u32_e32 v17, vcc_lo, v1, v17, vcc_lo
	s_wait_dscnt 0x1
	s_clause 0x1
	global_store_b64 v[12:13], v[2:3], off
	global_store_b64 v[14:15], v[4:5], off
	s_wait_dscnt 0x0
	s_clause 0x1
	global_store_b64 v[10:11], v[6:7], off
	global_store_b64 v[16:17], v[8:9], off
	v_mov_b32_e32 v11, v57
	v_lshlrev_b64_e32 v[6:7], 3, v[18:19]
	ds_load_2addr_b64 v[2:5], v20 offset0:192 offset1:248
	v_dual_mov_b32 v17, v57 :: v_dual_add_nc_u32 v8, 0x1f8, v56
	v_dual_mov_b32 v9, v57 :: v_dual_add_nc_u32 v20, 0x1000, v28
	v_add_co_u32 v12, vcc_lo, v0, v6
	v_add_nc_u32_e32 v10, 0x230, v56
	s_wait_alu 0xfffd
	v_add_co_ci_u32_e32 v13, vcc_lo, v1, v7, vcc_lo
	v_lshlrev_b64_e32 v[14:15], 3, v[8:9]
	ds_load_2addr_b64 v[6:9], v20 offset0:48 offset1:104
	v_add_nc_u32_e32 v16, 0x268, v56
	v_lshlrev_b64_e32 v[10:11], 3, v[10:11]
	v_dual_mov_b32 v27, v57 :: v_dual_add_nc_u32 v18, 0x2a0, v56
	v_add_co_u32 v14, vcc_lo, v0, v14
	s_delay_alu instid0(VALU_DEP_4)
	v_lshlrev_b64_e32 v[16:17], 3, v[16:17]
	s_wait_alu 0xfffd
	v_add_co_ci_u32_e32 v15, vcc_lo, v1, v15, vcc_lo
	v_add_co_u32 v10, vcc_lo, v0, v10
	s_wait_alu 0xfffd
	v_add_co_ci_u32_e32 v11, vcc_lo, v1, v11, vcc_lo
	v_add_co_u32 v16, vcc_lo, v0, v16
	s_wait_alu 0xfffd
	v_add_co_ci_u32_e32 v17, vcc_lo, v1, v17, vcc_lo
	s_wait_dscnt 0x1
	s_clause 0x1
	global_store_b64 v[12:13], v[2:3], off
	global_store_b64 v[14:15], v[4:5], off
	s_wait_dscnt 0x0
	s_clause 0x1
	global_store_b64 v[10:11], v[6:7], off
	global_store_b64 v[16:17], v[8:9], off
	v_lshlrev_b64_e32 v[6:7], 3, v[18:19]
	v_dual_mov_b32 v9, v57 :: v_dual_add_nc_u32 v8, 0x2d8, v56
	v_mov_b32_e32 v11, v57
	ds_load_2addr_b64 v[2:5], v20 offset0:160 offset1:216
	v_add_nc_u32_e32 v20, 0x1800, v28
	v_add_co_u32 v12, vcc_lo, v0, v6
	v_add_nc_u32_e32 v10, 0x310, v56
	s_wait_alu 0xfffd
	v_add_co_ci_u32_e32 v13, vcc_lo, v1, v7, vcc_lo
	v_lshlrev_b64_e32 v[14:15], 3, v[8:9]
	ds_load_2addr_b64 v[6:9], v20 offset0:16 offset1:72
	v_dual_mov_b32 v17, v57 :: v_dual_add_nc_u32 v16, 0x348, v56
	v_lshlrev_b64_e32 v[10:11], 3, v[10:11]
	v_add_nc_u32_e32 v18, 0x380, v56
	v_add_co_u32 v14, vcc_lo, v0, v14
	s_delay_alu instid0(VALU_DEP_4)
	v_lshlrev_b64_e32 v[16:17], 3, v[16:17]
	s_wait_alu 0xfffd
	v_add_co_ci_u32_e32 v15, vcc_lo, v1, v15, vcc_lo
	v_add_co_u32 v10, vcc_lo, v0, v10
	s_wait_alu 0xfffd
	v_add_co_ci_u32_e32 v11, vcc_lo, v1, v11, vcc_lo
	v_add_co_u32 v16, vcc_lo, v0, v16
	s_wait_alu 0xfffd
	v_add_co_ci_u32_e32 v17, vcc_lo, v1, v17, vcc_lo
	s_wait_dscnt 0x1
	s_clause 0x1
	global_store_b64 v[12:13], v[2:3], off
	global_store_b64 v[14:15], v[4:5], off
	s_wait_dscnt 0x0
	s_clause 0x1
	global_store_b64 v[10:11], v[6:7], off
	global_store_b64 v[16:17], v[8:9], off
	v_lshlrev_b64_e32 v[6:7], 3, v[18:19]
	v_dual_mov_b32 v9, v57 :: v_dual_add_nc_u32 v8, 0x3b8, v56
	v_add_nc_u32_e32 v16, 0x1c00, v28
	ds_load_2addr_b64 v[2:5], v20 offset0:128 offset1:184
	v_add_nc_u32_e32 v10, 0x3f0, v56
	v_add_co_u32 v12, vcc_lo, v0, v6
	v_mov_b32_e32 v11, v57
	s_wait_alu 0xfffd
	v_add_co_ci_u32_e32 v13, vcc_lo, v1, v7, vcc_lo
	v_lshlrev_b64_e32 v[14:15], 3, v[8:9]
	ds_load_2addr_b64 v[6:9], v16 offset0:112 offset1:168
	v_dual_mov_b32 v17, v57 :: v_dual_add_nc_u32 v16, 0x428, v56
	v_lshlrev_b64_e32 v[10:11], 3, v[10:11]
	v_add_nc_u32_e32 v18, 0x460, v56
	v_add_co_u32 v14, vcc_lo, v0, v14
	s_delay_alu instid0(VALU_DEP_4)
	v_lshlrev_b64_e32 v[16:17], 3, v[16:17]
	s_wait_alu 0xfffd
	v_add_co_ci_u32_e32 v15, vcc_lo, v1, v15, vcc_lo
	v_add_co_u32 v10, vcc_lo, v0, v10
	s_wait_alu 0xfffd
	v_add_co_ci_u32_e32 v11, vcc_lo, v1, v11, vcc_lo
	v_add_co_u32 v16, vcc_lo, v0, v16
	s_wait_alu 0xfffd
	v_add_co_ci_u32_e32 v17, vcc_lo, v1, v17, vcc_lo
	s_wait_dscnt 0x1
	s_clause 0x1
	global_store_b64 v[12:13], v[2:3], off
	global_store_b64 v[14:15], v[4:5], off
	s_wait_dscnt 0x0
	s_clause 0x1
	global_store_b64 v[10:11], v[6:7], off
	global_store_b64 v[16:17], v[8:9], off
	v_lshlrev_b64_e32 v[6:7], 3, v[18:19]
	v_add_nc_u32_e32 v20, 0x2000, v28
	v_dual_mov_b32 v9, v57 :: v_dual_add_nc_u32 v8, 0x498, v56
	v_add_nc_u32_e32 v16, 0x2400, v28
	v_add_nc_u32_e32 v10, 0x4d0, v56
	ds_load_2addr_b64 v[2:5], v20 offset0:96 offset1:152
	v_add_co_u32 v12, vcc_lo, v0, v6
	v_mov_b32_e32 v11, v57
	s_wait_alu 0xfffd
	v_add_co_ci_u32_e32 v13, vcc_lo, v1, v7, vcc_lo
	v_lshlrev_b64_e32 v[14:15], 3, v[8:9]
	ds_load_2addr_b64 v[6:9], v16 offset0:80 offset1:136
	v_dual_mov_b32 v17, v57 :: v_dual_add_nc_u32 v16, 0x508, v56
	v_lshlrev_b64_e32 v[10:11], 3, v[10:11]
	v_add_nc_u32_e32 v18, 0x540, v56
	v_add_co_u32 v14, vcc_lo, v0, v14
	s_delay_alu instid0(VALU_DEP_4)
	v_lshlrev_b64_e32 v[16:17], 3, v[16:17]
	s_wait_alu 0xfffd
	v_add_co_ci_u32_e32 v15, vcc_lo, v1, v15, vcc_lo
	v_add_co_u32 v10, vcc_lo, v0, v10
	s_wait_alu 0xfffd
	v_add_co_ci_u32_e32 v11, vcc_lo, v1, v11, vcc_lo
	v_add_co_u32 v16, vcc_lo, v0, v16
	s_wait_alu 0xfffd
	v_add_co_ci_u32_e32 v17, vcc_lo, v1, v17, vcc_lo
	s_wait_dscnt 0x1
	s_clause 0x1
	global_store_b64 v[12:13], v[2:3], off
	global_store_b64 v[14:15], v[4:5], off
	s_wait_dscnt 0x0
	s_clause 0x1
	global_store_b64 v[10:11], v[6:7], off
	global_store_b64 v[16:17], v[8:9], off
	v_lshlrev_b64_e32 v[6:7], 3, v[18:19]
	v_add_nc_u32_e32 v20, 0x2800, v28
	v_dual_mov_b32 v9, v57 :: v_dual_add_nc_u32 v8, 0x578, v56
	v_dual_mov_b32 v11, v57 :: v_dual_add_nc_u32 v10, 0x5b0, v56
	ds_load_2addr_b64 v[2:5], v20 offset0:64 offset1:120
	v_add_co_u32 v12, vcc_lo, v0, v6
	s_wait_alu 0xfffd
	v_add_co_ci_u32_e32 v13, vcc_lo, v1, v7, vcc_lo
	v_lshlrev_b64_e32 v[14:15], 3, v[8:9]
	ds_load_2addr_b64 v[6:9], v20 offset0:176 offset1:232
	v_dual_mov_b32 v17, v57 :: v_dual_add_nc_u32 v16, 0x5e8, v56
	v_lshlrev_b64_e32 v[10:11], 3, v[10:11]
	v_add_nc_u32_e32 v18, 0x620, v56
	v_add_co_u32 v14, vcc_lo, v0, v14
	s_delay_alu instid0(VALU_DEP_4)
	v_lshlrev_b64_e32 v[16:17], 3, v[16:17]
	s_wait_alu 0xfffd
	v_add_co_ci_u32_e32 v15, vcc_lo, v1, v15, vcc_lo
	v_add_co_u32 v10, vcc_lo, v0, v10
	s_wait_alu 0xfffd
	v_add_co_ci_u32_e32 v11, vcc_lo, v1, v11, vcc_lo
	v_add_co_u32 v16, vcc_lo, v0, v16
	s_wait_alu 0xfffd
	v_add_co_ci_u32_e32 v17, vcc_lo, v1, v17, vcc_lo
	v_add_nc_u32_e32 v20, 0x658, v56
	s_wait_dscnt 0x1
	s_clause 0x1
	global_store_b64 v[12:13], v[2:3], off
	global_store_b64 v[14:15], v[4:5], off
	s_wait_dscnt 0x0
	s_clause 0x1
	global_store_b64 v[10:11], v[6:7], off
	global_store_b64 v[16:17], v[8:9], off
	v_lshlrev_b64_e32 v[6:7], 3, v[18:19]
	v_dual_mov_b32 v11, v57 :: v_dual_add_nc_u32 v10, 0x690, v56
	v_lshlrev_b64_e32 v[8:9], 3, v[20:21]
	v_dual_mov_b32 v13, v57 :: v_dual_add_nc_u32 v12, 0x6c8, v56
	s_delay_alu instid0(VALU_DEP_4) | instskip(NEXT) | instid1(VALU_DEP_4)
	v_add_co_u32 v14, vcc_lo, v0, v6
	v_lshlrev_b64_e32 v[10:11], 3, v[10:11]
	s_wait_alu 0xfffd
	v_add_co_ci_u32_e32 v15, vcc_lo, v1, v7, vcc_lo
	v_add_co_u32 v16, vcc_lo, v0, v8
	s_wait_alu 0xfffd
	v_add_co_ci_u32_e32 v17, vcc_lo, v1, v9, vcc_lo
	v_add_co_u32 v18, vcc_lo, v0, v10
	v_add_nc_u32_e32 v20, 0x700, v56
	s_wait_alu 0xfffd
	v_add_co_ci_u32_e32 v19, vcc_lo, v1, v11, vcc_lo
	v_lshlrev_b64_e32 v[10:11], 3, v[12:13]
	ds_load_2addr_b64 v[2:5], v22 offset0:32 offset1:88
	ds_load_2addr_b64 v[6:9], v22 offset0:144 offset1:200
	v_add_nc_u32_e32 v22, 0x738, v56
	v_add_nc_u32_e32 v12, 0x3800, v28
	v_lshlrev_b64_e32 v[20:21], 3, v[20:21]
	v_add_co_u32 v24, vcc_lo, v0, v10
	s_delay_alu instid0(VALU_DEP_4)
	v_lshlrev_b64_e32 v[22:23], 3, v[22:23]
	s_wait_alu 0xfffd
	v_add_co_ci_u32_e32 v25, vcc_lo, v1, v11, vcc_lo
	ds_load_2addr_b64 v[10:13], v12 offset1:56
	ds_load_b64 v[28:29], v28 offset:15232
	v_add_co_u32 v20, vcc_lo, v0, v20
	v_lshlrev_b64_e32 v[26:27], 3, v[26:27]
	s_wait_alu 0xfffd
	v_add_co_ci_u32_e32 v21, vcc_lo, v1, v21, vcc_lo
	v_add_co_u32 v22, vcc_lo, v0, v22
	s_wait_alu 0xfffd
	v_add_co_ci_u32_e32 v23, vcc_lo, v1, v23, vcc_lo
	v_add_co_u32 v26, vcc_lo, v0, v26
	s_wait_alu 0xfffd
	v_add_co_ci_u32_e32 v27, vcc_lo, v1, v27, vcc_lo
	v_cmp_eq_u32_e32 vcc_lo, 55, v56
	s_wait_dscnt 0x3
	s_clause 0x1
	global_store_b64 v[14:15], v[2:3], off
	global_store_b64 v[16:17], v[4:5], off
	s_wait_dscnt 0x2
	s_clause 0x1
	global_store_b64 v[18:19], v[6:7], off
	global_store_b64 v[24:25], v[8:9], off
	;; [unrolled: 4-line block ×3, first 2 shown]
	s_wait_dscnt 0x0
	global_store_b64 v[26:27], v[28:29], off
	s_and_b32 exec_lo, exec_lo, vcc_lo
	s_cbranch_execz .LBB0_28
; %bb.27:
	ds_load_b64 v[2:3], v57 offset:15680
	s_wait_dscnt 0x0
	global_store_b64 v[0:1], v[2:3], off offset:15680
.LBB0_28:
	s_nop 0
	s_sendmsg sendmsg(MSG_DEALLOC_VGPRS)
	s_endpgm
	.section	.rodata,"a",@progbits
	.p2align	6, 0x0
	.amdhsa_kernel fft_rtc_back_len1960_factors_4_7_2_7_5_wgs_56_tpt_56_halfLds_sp_op_CI_CI_unitstride_sbrr_R2C_dirReg
		.amdhsa_group_segment_fixed_size 0
		.amdhsa_private_segment_fixed_size 0
		.amdhsa_kernarg_size 104
		.amdhsa_user_sgpr_count 2
		.amdhsa_user_sgpr_dispatch_ptr 0
		.amdhsa_user_sgpr_queue_ptr 0
		.amdhsa_user_sgpr_kernarg_segment_ptr 1
		.amdhsa_user_sgpr_dispatch_id 0
		.amdhsa_user_sgpr_private_segment_size 0
		.amdhsa_wavefront_size32 1
		.amdhsa_uses_dynamic_stack 0
		.amdhsa_enable_private_segment 0
		.amdhsa_system_sgpr_workgroup_id_x 1
		.amdhsa_system_sgpr_workgroup_id_y 0
		.amdhsa_system_sgpr_workgroup_id_z 0
		.amdhsa_system_sgpr_workgroup_info 0
		.amdhsa_system_vgpr_workitem_id 0
		.amdhsa_next_free_vgpr 160
		.amdhsa_next_free_sgpr 39
		.amdhsa_reserve_vcc 1
		.amdhsa_float_round_mode_32 0
		.amdhsa_float_round_mode_16_64 0
		.amdhsa_float_denorm_mode_32 3
		.amdhsa_float_denorm_mode_16_64 3
		.amdhsa_fp16_overflow 0
		.amdhsa_workgroup_processor_mode 1
		.amdhsa_memory_ordered 1
		.amdhsa_forward_progress 0
		.amdhsa_round_robin_scheduling 0
		.amdhsa_exception_fp_ieee_invalid_op 0
		.amdhsa_exception_fp_denorm_src 0
		.amdhsa_exception_fp_ieee_div_zero 0
		.amdhsa_exception_fp_ieee_overflow 0
		.amdhsa_exception_fp_ieee_underflow 0
		.amdhsa_exception_fp_ieee_inexact 0
		.amdhsa_exception_int_div_zero 0
	.end_amdhsa_kernel
	.text
.Lfunc_end0:
	.size	fft_rtc_back_len1960_factors_4_7_2_7_5_wgs_56_tpt_56_halfLds_sp_op_CI_CI_unitstride_sbrr_R2C_dirReg, .Lfunc_end0-fft_rtc_back_len1960_factors_4_7_2_7_5_wgs_56_tpt_56_halfLds_sp_op_CI_CI_unitstride_sbrr_R2C_dirReg
                                        ; -- End function
	.section	.AMDGPU.csdata,"",@progbits
; Kernel info:
; codeLenInByte = 24032
; NumSgprs: 41
; NumVgprs: 160
; ScratchSize: 0
; MemoryBound: 0
; FloatMode: 240
; IeeeMode: 1
; LDSByteSize: 0 bytes/workgroup (compile time only)
; SGPRBlocks: 5
; VGPRBlocks: 19
; NumSGPRsForWavesPerEU: 41
; NumVGPRsForWavesPerEU: 160
; Occupancy: 9
; WaveLimiterHint : 1
; COMPUTE_PGM_RSRC2:SCRATCH_EN: 0
; COMPUTE_PGM_RSRC2:USER_SGPR: 2
; COMPUTE_PGM_RSRC2:TRAP_HANDLER: 0
; COMPUTE_PGM_RSRC2:TGID_X_EN: 1
; COMPUTE_PGM_RSRC2:TGID_Y_EN: 0
; COMPUTE_PGM_RSRC2:TGID_Z_EN: 0
; COMPUTE_PGM_RSRC2:TIDIG_COMP_CNT: 0
	.text
	.p2alignl 7, 3214868480
	.fill 96, 4, 3214868480
	.type	__hip_cuid_cce1de7fc85c0aae,@object ; @__hip_cuid_cce1de7fc85c0aae
	.section	.bss,"aw",@nobits
	.globl	__hip_cuid_cce1de7fc85c0aae
__hip_cuid_cce1de7fc85c0aae:
	.byte	0                               ; 0x0
	.size	__hip_cuid_cce1de7fc85c0aae, 1

	.ident	"AMD clang version 19.0.0git (https://github.com/RadeonOpenCompute/llvm-project roc-6.4.0 25133 c7fe45cf4b819c5991fe208aaa96edf142730f1d)"
	.section	".note.GNU-stack","",@progbits
	.addrsig
	.addrsig_sym __hip_cuid_cce1de7fc85c0aae
	.amdgpu_metadata
---
amdhsa.kernels:
  - .args:
      - .actual_access:  read_only
        .address_space:  global
        .offset:         0
        .size:           8
        .value_kind:     global_buffer
      - .offset:         8
        .size:           8
        .value_kind:     by_value
      - .actual_access:  read_only
        .address_space:  global
        .offset:         16
        .size:           8
        .value_kind:     global_buffer
      - .actual_access:  read_only
        .address_space:  global
        .offset:         24
        .size:           8
        .value_kind:     global_buffer
      - .actual_access:  read_only
        .address_space:  global
        .offset:         32
        .size:           8
        .value_kind:     global_buffer
      - .offset:         40
        .size:           8
        .value_kind:     by_value
      - .actual_access:  read_only
        .address_space:  global
        .offset:         48
        .size:           8
        .value_kind:     global_buffer
      - .actual_access:  read_only
        .address_space:  global
        .offset:         56
        .size:           8
        .value_kind:     global_buffer
      - .offset:         64
        .size:           4
        .value_kind:     by_value
      - .actual_access:  read_only
        .address_space:  global
        .offset:         72
        .size:           8
        .value_kind:     global_buffer
      - .actual_access:  read_only
        .address_space:  global
        .offset:         80
        .size:           8
        .value_kind:     global_buffer
      - .actual_access:  read_only
        .address_space:  global
        .offset:         88
        .size:           8
        .value_kind:     global_buffer
      - .actual_access:  write_only
        .address_space:  global
        .offset:         96
        .size:           8
        .value_kind:     global_buffer
    .group_segment_fixed_size: 0
    .kernarg_segment_align: 8
    .kernarg_segment_size: 104
    .language:       OpenCL C
    .language_version:
      - 2
      - 0
    .max_flat_workgroup_size: 56
    .name:           fft_rtc_back_len1960_factors_4_7_2_7_5_wgs_56_tpt_56_halfLds_sp_op_CI_CI_unitstride_sbrr_R2C_dirReg
    .private_segment_fixed_size: 0
    .sgpr_count:     41
    .sgpr_spill_count: 0
    .symbol:         fft_rtc_back_len1960_factors_4_7_2_7_5_wgs_56_tpt_56_halfLds_sp_op_CI_CI_unitstride_sbrr_R2C_dirReg.kd
    .uniform_work_group_size: 1
    .uses_dynamic_stack: false
    .vgpr_count:     160
    .vgpr_spill_count: 0
    .wavefront_size: 32
    .workgroup_processor_mode: 1
amdhsa.target:   amdgcn-amd-amdhsa--gfx1201
amdhsa.version:
  - 1
  - 2
...

	.end_amdgpu_metadata
